;; amdgpu-corpus repo=ROCm/rocFFT kind=compiled arch=gfx906 opt=O3
	.text
	.amdgcn_target "amdgcn-amd-amdhsa--gfx906"
	.amdhsa_code_object_version 6
	.protected	bluestein_single_fwd_len153_dim1_half_op_CI_CI ; -- Begin function bluestein_single_fwd_len153_dim1_half_op_CI_CI
	.globl	bluestein_single_fwd_len153_dim1_half_op_CI_CI
	.p2align	8
	.type	bluestein_single_fwd_len153_dim1_half_op_CI_CI,@function
bluestein_single_fwd_len153_dim1_half_op_CI_CI: ; @bluestein_single_fwd_len153_dim1_half_op_CI_CI
; %bb.0:
	v_mul_u32_u24_e32 v1, 0xf10, v0
	s_load_dwordx4 s[0:3], s[4:5], 0x28
	v_lshrrev_b32_e32 v1, 16, v1
	v_mad_u64_u32 v[8:9], s[6:7], s6, 7, v[1:2]
	v_mov_b32_e32 v9, 0
	s_waitcnt lgkmcnt(0)
	v_cmp_gt_u64_e32 vcc, s[0:1], v[8:9]
	s_and_saveexec_b64 s[0:1], vcc
	s_cbranch_execz .LBB0_15
; %bb.1:
	s_mov_b32 s0, 0x24924925
	v_mul_hi_u32 v2, v8, s0
	s_load_dwordx2 s[6:7], s[4:5], 0x0
	s_load_dwordx2 s[12:13], s[4:5], 0x38
	v_mul_lo_u16_e32 v1, 17, v1
	v_sub_u16_e32 v25, v0, v1
	v_sub_u32_e32 v3, v8, v2
	v_lshrrev_b32_e32 v3, 1, v3
	v_add_u32_e32 v2, v3, v2
	v_lshrrev_b32_e32 v2, 2, v2
	v_mul_lo_u32 v2, v2, 7
	v_cmp_gt_u16_e32 vcc, 9, v25
	v_lshlrev_b32_e32 v26, 2, v25
	v_sub_u32_e32 v0, v8, v2
	v_mul_u32_u24_e32 v27, 0x99, v0
	v_lshlrev_b32_e32 v28, 2, v27
	s_and_saveexec_b64 s[14:15], vcc
	s_cbranch_execz .LBB0_3
; %bb.2:
	s_load_dwordx2 s[0:1], s[4:5], 0x18
	v_lshl_add_u32 v15, v25, 2, v28
	v_or_b32_e32 v35, 0x90, v25
	v_add_u32_e32 v16, v28, v26
	s_waitcnt lgkmcnt(0)
	s_load_dwordx4 s[8:11], s[0:1], 0x0
	s_waitcnt lgkmcnt(0)
	v_mad_u64_u32 v[0:1], s[0:1], s10, v8, 0
	v_mad_u64_u32 v[2:3], s[0:1], s8, v25, 0
	;; [unrolled: 1-line block ×4, first 2 shown]
	v_mov_b32_e32 v1, v4
	v_lshlrev_b64 v[0:1], 2, v[0:1]
	v_mov_b32_e32 v3, v5
	v_mov_b32_e32 v6, s3
	v_lshlrev_b64 v[2:3], 2, v[2:3]
	v_add_co_u32_e64 v5, s[0:1], s2, v0
	v_addc_co_u32_e64 v6, s[0:1], v6, v1, s[0:1]
	v_add_co_u32_e64 v0, s[0:1], v5, v2
	v_addc_co_u32_e64 v1, s[0:1], v6, v3, s[0:1]
	s_mul_i32 s0, s9, 36
	s_mul_hi_u32 s2, s8, 36
	s_add_i32 s2, s2, s0
	s_mul_i32 s3, s8, 36
	v_mov_b32_e32 v3, s2
	v_add_co_u32_e64 v2, s[0:1], s3, v0
	v_addc_co_u32_e64 v3, s[0:1], v1, v3, s[0:1]
	global_load_dword v4, v[0:1], off
	global_load_dword v7, v[2:3], off
	global_load_dword v9, v26, s[6:7]
	global_load_dword v10, v26, s[6:7] offset:36
	v_mov_b32_e32 v1, s2
	v_add_co_u32_e64 v0, s[0:1], s3, v2
	v_addc_co_u32_e64 v1, s[0:1], v3, v1, s[0:1]
	global_load_dword v2, v[0:1], off
	global_load_dword v3, v26, s[6:7] offset:72
	v_mov_b32_e32 v11, s2
	v_add_co_u32_e64 v0, s[0:1], s3, v0
	v_addc_co_u32_e64 v1, s[0:1], v1, v11, s[0:1]
	global_load_dword v11, v[0:1], off
	;; [unrolled: 5-line block ×3, first 2 shown]
	global_load_dword v14, v26, s[6:7] offset:144
	v_mov_b32_e32 v20, s2
	v_add_co_u32_e64 v0, s[0:1], s3, v0
	v_addc_co_u32_e64 v1, s[0:1], v1, v20, s[0:1]
	global_load_dword v17, v26, s[6:7] offset:180
	global_load_dword v18, v26, s[6:7] offset:216
	;; [unrolled: 1-line block ×3, first 2 shown]
	global_load_dword v20, v[0:1], off
	v_mov_b32_e32 v21, s2
	v_add_co_u32_e64 v0, s[0:1], s3, v0
	v_addc_co_u32_e64 v1, s[0:1], v1, v21, s[0:1]
	global_load_dword v21, v[0:1], off
	v_mov_b32_e32 v22, s2
	v_add_co_u32_e64 v0, s[0:1], s3, v0
	v_addc_co_u32_e64 v1, s[0:1], v1, v22, s[0:1]
	v_mov_b32_e32 v23, s2
	global_load_dword v22, v[0:1], off
	v_add_co_u32_e64 v0, s[0:1], s3, v0
	v_addc_co_u32_e64 v1, s[0:1], v1, v23, s[0:1]
	v_mov_b32_e32 v37, s2
	v_mov_b32_e32 v40, s2
	s_waitcnt vmcnt(15)
	v_lshrrev_b32_e32 v24, 16, v4
	s_waitcnt vmcnt(14)
	v_lshrrev_b32_e32 v30, 16, v7
	s_waitcnt vmcnt(13)
	v_mul_f16_sdwa v29, v9, v4 dst_sel:DWORD dst_unused:UNUSED_PAD src0_sel:WORD_1 src1_sel:DWORD
	v_fma_f16 v29, v9, v24, -v29
	v_mul_f16_sdwa v24, v9, v24 dst_sel:DWORD dst_unused:UNUSED_PAD src0_sel:WORD_1 src1_sel:DWORD
	s_waitcnt vmcnt(12)
	v_mul_f16_sdwa v31, v10, v7 dst_sel:DWORD dst_unused:UNUSED_PAD src0_sel:WORD_1 src1_sel:DWORD
	v_fma_f16 v4, v9, v4, v24
	v_fma_f16 v9, v10, v30, -v31
	v_mul_f16_sdwa v24, v10, v30 dst_sel:DWORD dst_unused:UNUSED_PAD src0_sel:WORD_1 src1_sel:DWORD
	s_waitcnt vmcnt(11)
	v_lshrrev_b32_e32 v30, 16, v2
	s_waitcnt vmcnt(10)
	v_mul_f16_sdwa v31, v3, v2 dst_sel:DWORD dst_unused:UNUSED_PAD src0_sel:WORD_1 src1_sel:DWORD
	v_fma_f16 v7, v10, v7, v24
	v_pack_b32_f16 v4, v4, v29
	v_mul_f16_sdwa v10, v3, v30 dst_sel:DWORD dst_unused:UNUSED_PAD src0_sel:WORD_1 src1_sel:DWORD
	s_waitcnt vmcnt(9)
	v_lshrrev_b32_e32 v29, 16, v11
	v_fma_f16 v24, v3, v30, -v31
	s_waitcnt vmcnt(8)
	v_mul_f16_sdwa v30, v12, v11 dst_sel:DWORD dst_unused:UNUSED_PAD src0_sel:WORD_1 src1_sel:DWORD
	v_fma_f16 v2, v3, v2, v10
	v_mul_f16_sdwa v3, v12, v29 dst_sel:DWORD dst_unused:UNUSED_PAD src0_sel:WORD_1 src1_sel:DWORD
	v_pack_b32_f16 v7, v7, v9
	v_fma_f16 v9, v12, v29, -v30
	v_pack_b32_f16 v24, v2, v24
	v_fma_f16 v11, v12, v11, v3
	global_load_dword v12, v[0:1], off
	v_mov_b32_e32 v2, s2
	v_add_co_u32_e64 v0, s[0:1], s3, v0
	ds_write_b32 v15, v4
	v_addc_co_u32_e64 v1, s[0:1], v1, v2, s[0:1]
	global_load_dword v23, v[0:1], off
	global_load_dword v29, v26, s[6:7] offset:288
	v_add_co_u32_e64 v0, s[0:1], s3, v0
	v_addc_co_u32_e64 v1, s[0:1], v1, v2, s[0:1]
	global_load_dword v30, v[0:1], off
	v_add_co_u32_e64 v0, s[0:1], s3, v0
	v_addc_co_u32_e64 v1, s[0:1], v1, v2, s[0:1]
	global_load_dword v31, v26, s[6:7] offset:324
	global_load_dword v32, v[0:1], off
	global_load_dword v33, v26, s[6:7] offset:360
	v_add_co_u32_e64 v0, s[0:1], s3, v0
	global_load_dword v36, v26, s[6:7] offset:396
	global_load_dword v38, v26, s[6:7] offset:432
	v_addc_co_u32_e64 v1, s[0:1], v1, v2, s[0:1]
	global_load_dword v34, v[0:1], off
	v_mad_u64_u32 v[2:3], s[0:1], s8, v35, 0
	v_mov_b32_e32 v4, s2
	v_add_co_u32_e64 v0, s[0:1], s3, v0
	v_addc_co_u32_e64 v1, s[0:1], v1, v4, s[0:1]
	v_mad_u64_u32 v[3:4], s[0:1], s9, v35, v[3:4]
	global_load_dword v4, v[0:1], off
	global_load_dword v35, v26, s[6:7] offset:468
	v_add_co_u32_e64 v0, s[0:1], s3, v0
	v_addc_co_u32_e64 v1, s[0:1], v1, v37, s[0:1]
	global_load_dword v37, v[0:1], off
	global_load_dword v39, v26, s[6:7] offset:504
	v_add_co_u32_e64 v0, s[0:1], s3, v0
	v_lshlrev_b64 v[2:3], 2, v[2:3]
	v_addc_co_u32_e64 v1, s[0:1], v1, v40, s[0:1]
	global_load_dword v40, v[0:1], off
	global_load_dword v41, v26, s[6:7] offset:540
	v_add_co_u32_e64 v0, s[0:1], v5, v2
	v_addc_co_u32_e64 v1, s[0:1], v6, v3, s[0:1]
	global_load_dword v2, v[0:1], off
	global_load_dword v3, v26, s[6:7] offset:576
	s_waitcnt vmcnt(25)
	v_lshrrev_b32_e32 v10, 16, v13
	s_waitcnt vmcnt(24)
	v_mul_f16_sdwa v15, v14, v13 dst_sel:DWORD dst_unused:UNUSED_PAD src0_sel:WORD_1 src1_sel:DWORD
	v_mul_f16_sdwa v0, v14, v10 dst_sel:DWORD dst_unused:UNUSED_PAD src0_sel:WORD_1 src1_sel:DWORD
	v_fma_f16 v1, v14, v10, -v15
	s_waitcnt vmcnt(20)
	v_lshrrev_b32_e32 v5, 16, v20
	v_fma_f16 v0, v14, v13, v0
	v_mul_f16_sdwa v6, v17, v20 dst_sel:DWORD dst_unused:UNUSED_PAD src0_sel:WORD_1 src1_sel:DWORD
	ds_write2_b32 v16, v7, v24 offset0:9 offset1:18
	v_pack_b32_f16 v7, v11, v9
	v_mul_f16_sdwa v9, v17, v5 dst_sel:DWORD dst_unused:UNUSED_PAD src0_sel:WORD_1 src1_sel:DWORD
	v_pack_b32_f16 v0, v0, v1
	v_fma_f16 v1, v17, v20, v9
	ds_write2_b32 v16, v7, v0 offset0:27 offset1:36
	v_fma_f16 v0, v17, v5, -v6
	v_pack_b32_f16 v0, v1, v0
	s_waitcnt vmcnt(19)
	v_lshrrev_b32_e32 v1, 16, v21
	v_mul_f16_sdwa v5, v18, v1 dst_sel:DWORD dst_unused:UNUSED_PAD src0_sel:WORD_1 src1_sel:DWORD
	v_mul_f16_sdwa v6, v18, v21 dst_sel:DWORD dst_unused:UNUSED_PAD src0_sel:WORD_1 src1_sel:DWORD
	v_fma_f16 v5, v18, v21, v5
	v_fma_f16 v1, v18, v1, -v6
	v_pack_b32_f16 v1, v5, v1
	ds_write2_b32 v16, v0, v1 offset0:45 offset1:54
	s_waitcnt vmcnt(18)
	v_lshrrev_b32_e32 v0, 16, v22
	v_mul_f16_sdwa v1, v19, v0 dst_sel:DWORD dst_unused:UNUSED_PAD src0_sel:WORD_1 src1_sel:DWORD
	v_mul_f16_sdwa v5, v19, v22 dst_sel:DWORD dst_unused:UNUSED_PAD src0_sel:WORD_1 src1_sel:DWORD
	v_fma_f16 v1, v19, v22, v1
	v_fma_f16 v0, v19, v0, -v5
	v_pack_b32_f16 v0, v1, v0
	s_waitcnt vmcnt(17)
	v_lshrrev_b32_e32 v1, 16, v12
	s_waitcnt vmcnt(15)
	v_mul_f16_sdwa v5, v29, v1 dst_sel:DWORD dst_unused:UNUSED_PAD src0_sel:WORD_1 src1_sel:DWORD
	v_mul_f16_sdwa v6, v29, v12 dst_sel:DWORD dst_unused:UNUSED_PAD src0_sel:WORD_1 src1_sel:DWORD
	v_fma_f16 v5, v29, v12, v5
	v_fma_f16 v1, v29, v1, -v6
	v_pack_b32_f16 v1, v5, v1
	ds_write2_b32 v16, v0, v1 offset0:63 offset1:72
	v_lshrrev_b32_e32 v0, 16, v23
	s_waitcnt vmcnt(13)
	v_mul_f16_sdwa v1, v31, v0 dst_sel:DWORD dst_unused:UNUSED_PAD src0_sel:WORD_1 src1_sel:DWORD
	v_mul_f16_sdwa v5, v31, v23 dst_sel:DWORD dst_unused:UNUSED_PAD src0_sel:WORD_1 src1_sel:DWORD
	v_fma_f16 v1, v31, v23, v1
	v_fma_f16 v0, v31, v0, -v5
	v_pack_b32_f16 v0, v1, v0
	v_lshrrev_b32_e32 v1, 16, v30
	s_waitcnt vmcnt(11)
	v_mul_f16_sdwa v5, v33, v1 dst_sel:DWORD dst_unused:UNUSED_PAD src0_sel:WORD_1 src1_sel:DWORD
	v_mul_f16_sdwa v6, v33, v30 dst_sel:DWORD dst_unused:UNUSED_PAD src0_sel:WORD_1 src1_sel:DWORD
	v_fma_f16 v5, v33, v30, v5
	v_fma_f16 v1, v33, v1, -v6
	v_pack_b32_f16 v1, v5, v1
	ds_write2_b32 v16, v0, v1 offset0:81 offset1:90
	v_lshrrev_b32_e32 v0, 16, v32
	s_waitcnt vmcnt(10)
	v_mul_f16_sdwa v1, v36, v0 dst_sel:DWORD dst_unused:UNUSED_PAD src0_sel:WORD_1 src1_sel:DWORD
	v_mul_f16_sdwa v5, v36, v32 dst_sel:DWORD dst_unused:UNUSED_PAD src0_sel:WORD_1 src1_sel:DWORD
	v_fma_f16 v1, v36, v32, v1
	v_fma_f16 v0, v36, v0, -v5
	v_pack_b32_f16 v0, v1, v0
	s_waitcnt vmcnt(8)
	v_lshrrev_b32_e32 v1, 16, v34
	v_mul_f16_sdwa v5, v38, v1 dst_sel:DWORD dst_unused:UNUSED_PAD src0_sel:WORD_1 src1_sel:DWORD
	v_mul_f16_sdwa v6, v38, v34 dst_sel:DWORD dst_unused:UNUSED_PAD src0_sel:WORD_1 src1_sel:DWORD
	v_fma_f16 v5, v38, v34, v5
	v_fma_f16 v1, v38, v1, -v6
	v_pack_b32_f16 v1, v5, v1
	ds_write2_b32 v16, v0, v1 offset0:99 offset1:108
	s_waitcnt vmcnt(7)
	v_lshrrev_b32_e32 v0, 16, v4
	s_waitcnt vmcnt(6)
	v_mul_f16_sdwa v1, v35, v0 dst_sel:DWORD dst_unused:UNUSED_PAD src0_sel:WORD_1 src1_sel:DWORD
	v_fma_f16 v1, v35, v4, v1
	v_mul_f16_sdwa v4, v35, v4 dst_sel:DWORD dst_unused:UNUSED_PAD src0_sel:WORD_1 src1_sel:DWORD
	v_fma_f16 v0, v35, v0, -v4
	v_pack_b32_f16 v0, v1, v0
	s_waitcnt vmcnt(5)
	v_lshrrev_b32_e32 v1, 16, v37
	s_waitcnt vmcnt(4)
	v_mul_f16_sdwa v4, v39, v1 dst_sel:DWORD dst_unused:UNUSED_PAD src0_sel:WORD_1 src1_sel:DWORD
	v_mul_f16_sdwa v5, v39, v37 dst_sel:DWORD dst_unused:UNUSED_PAD src0_sel:WORD_1 src1_sel:DWORD
	v_fma_f16 v4, v39, v37, v4
	v_fma_f16 v1, v39, v1, -v5
	v_pack_b32_f16 v1, v4, v1
	ds_write2_b32 v16, v0, v1 offset0:117 offset1:126
	s_waitcnt vmcnt(3)
	v_lshrrev_b32_e32 v0, 16, v40
	s_waitcnt vmcnt(2)
	v_mul_f16_sdwa v1, v41, v0 dst_sel:DWORD dst_unused:UNUSED_PAD src0_sel:WORD_1 src1_sel:DWORD
	v_mul_f16_sdwa v4, v41, v40 dst_sel:DWORD dst_unused:UNUSED_PAD src0_sel:WORD_1 src1_sel:DWORD
	v_fma_f16 v1, v41, v40, v1
	v_fma_f16 v0, v41, v0, -v4
	v_pack_b32_f16 v0, v1, v0
	s_waitcnt vmcnt(1)
	v_lshrrev_b32_e32 v1, 16, v2
	s_waitcnt vmcnt(0)
	v_mul_f16_sdwa v4, v3, v1 dst_sel:DWORD dst_unused:UNUSED_PAD src0_sel:WORD_1 src1_sel:DWORD
	v_fma_f16 v4, v3, v2, v4
	v_mul_f16_sdwa v2, v3, v2 dst_sel:DWORD dst_unused:UNUSED_PAD src0_sel:WORD_1 src1_sel:DWORD
	v_fma_f16 v1, v3, v1, -v2
	v_pack_b32_f16 v1, v4, v1
	ds_write2_b32 v16, v0, v1 offset0:135 offset1:144
.LBB0_3:
	s_or_b64 exec, exec, s[14:15]
	s_load_dwordx2 s[2:3], s[4:5], 0x20
	s_load_dwordx2 s[0:1], s[4:5], 0x8
	v_mov_b32_e32 v0, 0
	s_waitcnt lgkmcnt(0)
	s_barrier
	s_waitcnt lgkmcnt(0)
                                        ; implicit-def: $vgpr21
                                        ; implicit-def: $vgpr3
                                        ; implicit-def: $vgpr5
                                        ; implicit-def: $vgpr7
                                        ; implicit-def: $vgpr16
                                        ; implicit-def: $vgpr18
                                        ; implicit-def: $vgpr20
                                        ; implicit-def: $vgpr13
                                        ; implicit-def: $vgpr46
	s_and_saveexec_b64 s[4:5], vcc
	s_cbranch_execz .LBB0_5
; %bb.4:
	v_lshl_add_u32 v9, v27, 2, v26
	ds_read2_b32 v[0:1], v9 offset1:9
	ds_read2_b32 v[12:13], v9 offset0:18 offset1:27
	ds_read2_b32 v[19:20], v9 offset0:36 offset1:45
	;; [unrolled: 1-line block ×7, first 2 shown]
	ds_read_b32 v21, v9 offset:576
	s_waitcnt lgkmcnt(7)
	v_alignbit_b32 v46, v12, v12, 16
.LBB0_5:
	s_or_b64 exec, exec, s[4:5]
	s_waitcnt lgkmcnt(0)
	v_pk_add_f16 v14, v1, v21 neg_lo:[0,1] neg_hi:[0,1]
	s_mov_b32 s9, 0xbbf7
	v_pk_add_f16 v42, v21, v1
	s_movk_i32 s4, 0x2de8
	v_mul_f16_sdwa v22, v14, s9 dst_sel:DWORD dst_unused:UNUSED_PAD src0_sel:WORD_1 src1_sel:DWORD
	s_mov_b32 s14, 0xb1e1
	v_pk_add_f16 v45, v3, v46 op_sel:[1,0] op_sel_hi:[0,1]
	v_pk_add_f16 v29, v46, v3 op_sel:[1,0] op_sel_hi:[0,1] neg_lo:[0,1] neg_hi:[0,1]
	v_fma_f16 v9, v42, s4, v22
	s_mov_b32 s17, 0xbbb2
	s_mov_b32 s10, 0xbbdd
	v_lshrrev_b32_e32 v53, 16, v45
	v_mul_f16_sdwa v23, v29, s14 dst_sel:DWORD dst_unused:UNUSED_PAD src0_sel:WORD_1 src1_sel:DWORD
	v_add_f16_e32 v9, v9, v0
	s_mov_b32 s5, 0xb461
	v_fma_f16 v10, v53, s10, v23
	v_mul_f16_sdwa v24, v14, s17 dst_sel:DWORD dst_unused:UNUSED_PAD src0_sel:WORD_1 src1_sel:DWORD
	s_movk_i32 s11, 0x3836
	v_add_f16_e32 v9, v10, v9
	v_fma_f16 v10, v42, s5, v24
	s_mov_b32 s8, 0xbacd
	v_mul_f16_sdwa v40, v29, s11 dst_sel:DWORD dst_unused:UNUSED_PAD src0_sel:WORD_1 src1_sel:DWORD
	s_movk_i32 s19, 0x3bb2
	v_pk_add_f16 v37, v13, v2 neg_lo:[0,1] neg_hi:[0,1]
	v_add_f16_e32 v10, v10, v0
	v_fma_f16 v11, v53, s8, v40
	v_pk_add_f16 v49, v2, v13
	v_mul_f16_sdwa v41, v37, s19 dst_sel:DWORD dst_unused:UNUSED_PAD src0_sel:WORD_1 src1_sel:DWORD
	s_movk_i32 s20, 0x3964
	v_add_f16_e32 v10, v11, v10
	v_fma_f16 v11, v49, s5, v41
	s_movk_i32 s15, 0x39e9
	v_mul_f16_sdwa v43, v37, s20 dst_sel:DWORD dst_unused:UNUSED_PAD src0_sel:WORD_1 src1_sel:DWORD
	s_movk_i32 s11, 0x35c8
	v_pk_add_f16 v38, v19, v5 neg_lo:[0,1] neg_hi:[0,1]
	v_add_f16_e32 v9, v11, v9
	v_fma_f16 v11, v49, s15, v43
	s_movk_i32 s16, 0x3b76
	v_pk_add_f16 v52, v5, v19
	v_mul_f16_sdwa v44, v38, s11 dst_sel:DWORD dst_unused:UNUSED_PAD src0_sel:WORD_1 src1_sel:DWORD
	s_mov_b32 s22, 0xbb29
	v_add_f16_e32 v10, v11, v10
	v_fma_f16 v11, v52, s16, v44
	s_movk_i32 s11, 0x3722
	v_mul_f16_sdwa v47, v38, s22 dst_sel:DWORD dst_unused:UNUSED_PAD src0_sel:WORD_1 src1_sel:DWORD
	v_pk_add_f16 v39, v20, v4 neg_lo:[0,1] neg_hi:[0,1]
	v_add_f16_e32 v9, v11, v9
	v_fma_f16 v11, v52, s11, v47
	v_pk_add_f16 v58, v4, v20
	v_mul_f16_sdwa v48, v39, s22 dst_sel:DWORD dst_unused:UNUSED_PAD src0_sel:WORD_1 src1_sel:DWORD
	v_add_f16_e32 v10, v11, v10
	v_fma_f16 v11, v58, s11, v48
	v_mul_f16_sdwa v50, v39, s14 dst_sel:DWORD dst_unused:UNUSED_PAD src0_sel:WORD_1 src1_sel:DWORD
	s_mov_b32 s18, 0xb836
	v_pk_add_f16 v142, v17, v7 neg_lo:[0,1] neg_hi:[0,1]
	v_add_f16_e32 v9, v11, v9
	v_fma_f16 v11, v58, s10, v50
	v_pk_add_f16 v66, v7, v17
	v_mul_f16_sdwa v51, v142, s18 dst_sel:DWORD dst_unused:UNUSED_PAD src0_sel:WORD_1 src1_sel:DWORD
	s_movk_i32 s23, 0x3bf7
	v_add_f16_e32 v10, v11, v10
	v_fma_f16 v11, v66, s8, v51
	v_mul_f16_sdwa v54, v142, s23 dst_sel:DWORD dst_unused:UNUSED_PAD src0_sel:WORD_1 src1_sel:DWORD
	s_movk_i32 s24, 0x3a62
	v_pk_add_f16 v146, v18, v6 neg_lo:[0,1] neg_hi:[0,1]
	v_add_f16_e32 v9, v11, v9
	v_fma_f16 v11, v66, s4, v54
	s_mov_b32 s21, 0xb8d2
	v_pk_add_f16 v73, v6, v18
	v_mul_f16_sdwa v55, v146, s24 dst_sel:DWORD dst_unused:UNUSED_PAD src0_sel:WORD_1 src1_sel:DWORD
	s_mov_b32 s24, 0xb5c8
	v_add_f16_e32 v10, v11, v10
	v_fma_f16 v11, v73, s21, v55
	v_mul_f16_sdwa v59, v146, s24 dst_sel:DWORD dst_unused:UNUSED_PAD src0_sel:WORD_1 src1_sel:DWORD
	v_pk_add_f16 v163, v15, v16 neg_lo:[0,1] neg_hi:[0,1]
	v_add_f16_e32 v9, v11, v9
	v_fma_f16 v11, v73, s16, v59
	s_mov_b32 s25, 0xba62
	v_pk_add_f16 v84, v16, v15
	v_mul_f16_sdwa v62, v163, s20 dst_sel:DWORD dst_unused:UNUSED_PAD src0_sel:WORD_1 src1_sel:DWORD
	v_add_f16_e32 v11, v11, v10
	v_fma_f16 v10, v84, s15, v62
	v_mul_f16_sdwa v70, v163, s25 dst_sel:DWORD dst_unused:UNUSED_PAD src0_sel:WORD_1 src1_sel:DWORD
	v_add_f16_e32 v10, v10, v9
	v_fma_f16 v9, v84, s21, v70
	v_mul_f16_sdwa v56, v14, s24 dst_sel:DWORD dst_unused:UNUSED_PAD src0_sel:WORD_1 src1_sel:DWORD
	s_mov_b32 s26, 0xb964
	v_add_f16_e32 v9, v9, v11
	v_fma_f16 v11, v42, s16, v56
	v_mul_f16_sdwa v57, v29, s26 dst_sel:DWORD dst_unused:UNUSED_PAD src0_sel:WORD_1 src1_sel:DWORD
	v_add_f16_e32 v11, v11, v0
	v_fma_f16 v12, v53, s15, v57
	v_lshrrev_b32_e32 v143, 16, v42
	v_mul_f16_e32 v60, 0xb964, v14
	v_add_f16_e32 v11, v12, v11
	v_fma_f16 v12, v143, s15, -v60
	v_mul_f16_e32 v61, 0xbbf7, v29
	v_add_f16_sdwa v12, v12, v0 dst_sel:DWORD dst_unused:UNUSED_PAD src0_sel:DWORD src1_sel:WORD_1
	v_fma_f16 v30, v45, s4, -v61
	v_mul_f16_sdwa v63, v14, s22 dst_sel:DWORD dst_unused:UNUSED_PAD src0_sel:WORD_1 src1_sel:DWORD
	v_add_f16_e32 v12, v30, v12
	v_fma_f16 v30, v42, s11, v63
	v_mul_f16_sdwa v64, v29, s25 dst_sel:DWORD dst_unused:UNUSED_PAD src0_sel:WORD_1 src1_sel:DWORD
	v_add_f16_e32 v30, v30, v0
	v_fma_f16 v31, v53, s21, v64
	v_mul_f16_e32 v67, 0xbb29, v14
	v_add_f16_e32 v30, v31, v30
	v_fma_f16 v31, v143, s11, -v67
	v_mul_f16_e32 v68, 0xba62, v29
	v_add_f16_sdwa v31, v31, v0 dst_sel:DWORD dst_unused:UNUSED_PAD src0_sel:DWORD src1_sel:WORD_1
	v_fma_f16 v32, v45, s21, -v68
	v_mul_f16_e32 v74, 0xbbf7, v14
	v_add_f16_e32 v31, v32, v31
	v_fma_f16 v32, v143, s4, -v74
	v_mul_f16_e32 v75, 0xb1e1, v29
	v_add_f16_sdwa v32, v32, v0 dst_sel:DWORD dst_unused:UNUSED_PAD src0_sel:DWORD src1_sel:WORD_1
	v_fma_f16 v33, v45, s10, -v75
	;; [unrolled: 6-line block ×3, first 2 shown]
	v_mul_f16_sdwa v88, v14, s25 dst_sel:DWORD dst_unused:UNUSED_PAD src0_sel:WORD_1 src1_sel:DWORD
	v_add_f16_e32 v33, v34, v33
	v_fma_f16 v34, v42, s21, v88
	v_mul_f16_sdwa v91, v29, s19 dst_sel:DWORD dst_unused:UNUSED_PAD src0_sel:WORD_1 src1_sel:DWORD
	v_add_f16_e32 v34, v34, v0
	v_fma_f16 v35, v53, s5, v91
	v_mul_f16_e32 v96, 0xba62, v14
	v_add_f16_e32 v34, v35, v34
	v_fma_f16 v35, v143, s21, -v96
	v_mul_f16_e32 v97, 0x3bb2, v29
	v_add_f16_sdwa v35, v35, v0 dst_sel:DWORD dst_unused:UNUSED_PAD src0_sel:DWORD src1_sel:WORD_1
	v_fma_f16 v36, v45, s5, -v97
	v_mul_f16_e32 v105, 0xb836, v14
	v_add_f16_e32 v35, v36, v35
	v_fma_f16 v36, v143, s8, -v105
	v_mul_f16_e32 v106, 0x3b29, v29
	v_add_f16_sdwa v36, v36, v0 dst_sel:DWORD dst_unused:UNUSED_PAD src0_sel:DWORD src1_sel:WORD_1
	v_fma_f16 v65, v45, s11, -v106
	;; [unrolled: 6-line block ×3, first 2 shown]
	v_add_f16_e32 v71, v69, v65
	v_mul_f16_sdwa v65, v37, s22 dst_sel:DWORD dst_unused:UNUSED_PAD src0_sel:WORD_1 src1_sel:DWORD
	v_fma_f16 v69, v49, s11, v65
	v_add_f16_e32 v11, v69, v11
	v_lshrrev_b32_e32 v151, 16, v49
	v_mul_f16_e32 v69, 0xba62, v37
	v_fma_f16 v72, v151, s21, -v69
	s_movk_i32 s22, 0x31e1
	v_add_f16_e32 v12, v72, v12
	v_mul_f16_sdwa v72, v37, s22 dst_sel:DWORD dst_unused:UNUSED_PAD src0_sel:WORD_1 src1_sel:DWORD
	v_fma_f16 v76, v49, s10, v72
	v_mul_f16_e32 v78, 0x31e1, v37
	v_add_f16_e32 v30, v76, v30
	v_fma_f16 v76, v151, s10, -v78
	v_mul_f16_e32 v86, 0x3bb2, v37
	v_add_f16_e32 v31, v76, v31
	v_fma_f16 v76, v151, s5, -v86
	v_mul_f16_e32 v95, 0x3964, v37
	v_add_f16_e32 v32, v76, v32
	v_fma_f16 v76, v151, s15, -v95
	v_mul_f16_sdwa v101, v37, s24 dst_sel:DWORD dst_unused:UNUSED_PAD src0_sel:WORD_1 src1_sel:DWORD
	v_add_f16_e32 v33, v76, v33
	v_fma_f16 v76, v49, s16, v101
	v_mul_f16_e32 v107, 0xb5c8, v37
	v_add_f16_e32 v34, v76, v34
	v_fma_f16 v76, v151, s16, -v107
	v_mul_f16_e32 v119, 0xbbf7, v37
	v_add_f16_e32 v35, v76, v35
	v_fma_f16 v76, v151, s4, -v119
	v_mul_f16_e32 v135, 0xb836, v37
	v_add_f16_e32 v36, v76, v36
	v_fma_f16 v76, v151, s8, -v135
	v_add_f16_e32 v77, v76, v71
	v_mul_f16_sdwa v71, v38, s9 dst_sel:DWORD dst_unused:UNUSED_PAD src0_sel:WORD_1 src1_sel:DWORD
	v_fma_f16 v76, v52, s4, v71
	v_add_f16_e32 v11, v76, v11
	v_lshrrev_b32_e32 v155, 16, v52
	v_mul_f16_e32 v76, 0xb1e1, v38
	v_fma_f16 v79, v155, s10, -v76
	v_add_f16_e32 v12, v79, v12
	v_mul_f16_sdwa v79, v38, s19 dst_sel:DWORD dst_unused:UNUSED_PAD src0_sel:WORD_1 src1_sel:DWORD
	v_fma_f16 v80, v52, s5, v79
	v_mul_f16_e32 v85, 0x3bb2, v38
	v_add_f16_e32 v30, v80, v30
	v_fma_f16 v80, v155, s5, -v85
	v_mul_f16_e32 v93, 0x35c8, v38
	v_add_f16_e32 v31, v80, v31
	v_fma_f16 v80, v155, s16, -v93
	v_mul_f16_e32 v104, 0xbb29, v38
	v_add_f16_e32 v32, v80, v32
	v_fma_f16 v80, v155, s11, -v104
	v_mul_f16_sdwa v109, v38, s18 dst_sel:DWORD dst_unused:UNUSED_PAD src0_sel:WORD_1 src1_sel:DWORD
	v_add_f16_e32 v33, v80, v33
	v_fma_f16 v80, v52, s8, v109
	v_mul_f16_e32 v120, 0xb836, v38
	v_add_f16_e32 v34, v80, v34
	v_fma_f16 v80, v155, s8, -v120
	v_mul_f16_e32 v129, 0x3a62, v38
	v_add_f16_e32 v35, v80, v35
	v_fma_f16 v80, v155, s21, -v129
	v_mul_f16_e32 v145, 0x3964, v38
	v_add_f16_e32 v36, v80, v36
	v_fma_f16 v80, v155, s15, -v145
	v_add_f16_e32 v81, v80, v77
	v_mul_f16_sdwa v77, v39, s17 dst_sel:DWORD dst_unused:UNUSED_PAD src0_sel:WORD_1 src1_sel:DWORD
	v_fma_f16 v80, v58, s5, v77
	v_add_f16_e32 v11, v80, v11
	v_lshrrev_b32_e32 v157, 16, v58
	v_mul_f16_e32 v80, 0x3836, v39
	v_fma_f16 v87, v157, s8, -v80
	;; [unrolled: 31-line block ×4, first 2 shown]
	v_add_f16_e32 v131, v103, v12
	v_mul_f16_sdwa v103, v146, s9 dst_sel:DWORD dst_unused:UNUSED_PAD src0_sel:WORD_1 src1_sel:DWORD
	v_fma_f16 v12, v73, s4, v103
	v_mul_f16_e32 v108, 0xbbf7, v146
	v_add_f16_e32 v12, v12, v30
	v_fma_f16 v30, v161, s4, -v108
	v_mul_f16_e32 v124, 0x3a62, v146
	v_add_f16_e32 v133, v30, v31
	v_fma_f16 v30, v161, s21, -v124
	;; [unrolled: 3-line block ×3, first 2 shown]
	v_mul_f16_sdwa v144, v146, s14 dst_sel:DWORD dst_unused:UNUSED_PAD src0_sel:WORD_1 src1_sel:DWORD
	v_add_f16_e32 v33, v30, v33
	v_fma_f16 v30, v73, s10, v144
	v_mul_f16_e32 v150, 0xb1e1, v146
	v_add_f16_e32 v174, v30, v34
	v_fma_f16 v30, v161, s10, -v150
	v_mul_f16_e32 v153, 0x3964, v146
	v_add_f16_e32 v35, v30, v35
	v_fma_f16 v30, v161, s15, -v153
	;; [unrolled: 3-line block ×3, first 2 shown]
	v_add_f16_e32 v147, v30, v99
	v_mul_f16_sdwa v99, v163, s14 dst_sel:DWORD dst_unused:UNUSED_PAD src0_sel:WORD_1 src1_sel:DWORD
	s_mov_b32 s9, 0x3b7639e9
	v_fma_f16 v30, v84, s10, v99
	s_mov_b32 s10, 0xb964b5c8
	s_mov_b32 s14, 0xbbf7b964
	v_pk_mul_f16 v140, v42, s9
	s_mov_b32 s19, 0x2de839e9
	s_mov_b32 s17, 0x3722b8d2
	v_pk_fma_f16 v110, v14, s10, v140 op_sel:[0,0,1] op_sel_hi:[1,1,0]
	v_pk_mul_f16 v175, v29, s14
	v_add_f16_e32 v30, v30, v11
	s_mov_b32 s20, 0xba62bb29
	s_mov_b32 s22, 0x2de8bbdd
	v_pk_fma_f16 v111, v45, s19, v175
	v_add_f16_sdwa v11, v110, v0 dst_sel:DWORD dst_unused:UNUSED_PAD src0_sel:WORD_1 src1_sel:DWORD
	v_pk_mul_f16 v167, v49, s17
	s_mov_b32 s23, 0xb1e1bbf7
	s_mov_b32 s24, 0xb461bacd
	v_add_f16_sdwa v11, v111, v11 dst_sel:DWORD dst_unused:UNUSED_PAD src0_sel:WORD_1 src1_sel:DWORD
	v_pk_fma_f16 v113, v37, s20, v167 op_sel:[0,0,1] op_sel_hi:[1,1,0]
	v_pk_mul_f16 v168, v52, s22
	s_mov_b32 s25, 0x3836bbb2
	s_mov_b32 s26, 0xb8d2b461
	v_add_f16_sdwa v11, v113, v11 dst_sel:DWORD dst_unused:UNUSED_PAD src0_sel:WORD_1 src1_sel:DWORD
	v_pk_fma_f16 v114, v38, s23, v168 op_sel:[0,0,1] op_sel_hi:[1,1,0]
	;; [unrolled: 5-line block ×3, first 2 shown]
	v_pk_mul_f16 v170, v66, s26
	v_lshrrev_b32_e32 v164, 16, v84
	v_mul_f16_e32 v154, 0xba62, v163
	s_mov_b32 s29, 0x3b29b836
	s_mov_b32 s30, 0xbbdd3b76
	v_add_f16_sdwa v11, v115, v11 dst_sel:DWORD dst_unused:UNUSED_PAD src0_sel:WORD_1 src1_sel:DWORD
	v_pk_fma_f16 v117, v142, s27, v170 op_sel:[0,0,1] op_sel_hi:[1,1,0]
	v_pk_mul_f16 v171, v73, s28
	v_fma_f16 v36, v164, s21, -v154
	v_mul_f16_e32 v159, 0x3b29, v163
	s_mov_b32 s31, 0x35c8b1e1
	v_add_f16_sdwa v11, v117, v11 dst_sel:DWORD dst_unused:UNUSED_PAD src0_sel:WORD_1 src1_sel:DWORD
	v_pk_fma_f16 v118, v146, s29, v171 op_sel:[0,0,1] op_sel_hi:[1,1,0]
	v_mul_f16_sdwa v128, v163, s18 dst_sel:DWORD dst_unused:UNUSED_PAD src0_sel:WORD_1 src1_sel:DWORD
	v_pk_mul_f16 v176, v84, s30
	v_add_f16_e32 v36, v36, v33
	v_fma_f16 v33, v164, s11, -v159
	v_mul_f16_e32 v162, 0xbbb2, v163
	v_add_f16_sdwa v31, v118, v11 dst_sel:DWORD dst_unused:UNUSED_PAD src0_sel:WORD_1 src1_sel:DWORD
	v_fma_f16 v11, v84, s8, v128
	v_pk_fma_f16 v121, v163, s31, v176 op_sel:[0,0,1] op_sel_hi:[1,1,0]
	v_mul_f16_e32 v123, 0x35c8, v163
	v_mul_f16_e32 v136, 0xb836, v163
	v_add_f16_e32 v35, v33, v35
	v_fma_f16 v33, v164, s5, -v162
	s_mov_b32 s5, 0xb836b1e1
	v_add_f16_e32 v11, v11, v12
	v_add_f16_sdwa v12, v121, v31 dst_sel:DWORD dst_unused:UNUSED_PAD src0_sel:WORD_1 src1_sel:DWORD
	v_fma_f16 v31, v164, s16, -v123
	v_fma_f16 v32, v164, s8, -v136
	s_mov_b32 s8, 0xbacdbbdd
	v_pk_mul_f16 v165, v14, s5 op_sel:[1,0]
	s_mov_b32 s5, 0x3b2935c8
	v_add_f16_e32 v31, v31, v131
	v_mul_f16_e32 v148, 0x3964, v163
	v_pk_fma_f16 v131, v14, s10, v140 op_sel:[0,0,1] op_sel_hi:[1,1,0] neg_lo:[1,0,0] neg_hi:[1,0,0]
	v_pk_fma_f16 v14, v42, s8, v165 op_sel_hi:[0,1,1]
	s_mov_b32 s9, 0x37223b76
	v_pk_mul_f16 v166, v29, s5 op_sel:[1,0]
	s_mov_b32 s5, 0xbbf7b836
	v_add_f16_e32 v32, v32, v133
	v_fma_f16 v34, v164, s15, -v148
	v_pk_add_f16 v14, v14, v0 op_sel_hi:[1,0]
	v_pk_fma_f16 v29, v45, s9, v166 op_sel:[1,0,0]
	v_pk_fma_f16 v133, v37, s20, v167 op_sel:[0,0,1] op_sel_hi:[1,1,0] neg_lo:[1,0,0] neg_hi:[1,0,0]
	s_mov_b32 s10, 0x2de8bacd
	v_pk_mul_f16 v167, v37, s5 op_sel:[1,0]
	s_mov_b32 s5, 0x3a623964
	v_add_f16_e32 v34, v34, v134
	v_pk_add_f16 v14, v29, v14
	v_pk_fma_f16 v29, v49, s10, v167 op_sel_hi:[0,1,1]
	v_pk_fma_f16 v134, v38, s23, v168 op_sel:[0,0,1] op_sel_hi:[1,1,0] neg_lo:[1,0,0] neg_hi:[1,0,0]
	s_mov_b32 s14, 0xb8d239e9
	v_pk_mul_f16 v168, v38, s5 op_sel:[1,0]
	s_mov_b32 s5, 0xb5c8ba62
	v_add_f16_e32 v33, v33, v138
	v_pk_add_f16 v14, v29, v14
	v_pk_fma_f16 v29, v52, s14, v168 op_sel_hi:[0,1,1]
	v_pk_fma_f16 v138, v39, s25, v169 op_sel:[0,0,1] op_sel_hi:[1,1,0] neg_lo:[1,0,0] neg_hi:[1,0,0]
	s_mov_b32 s15, 0x3b76b8d2
	v_pk_mul_f16 v169, v39, s5 op_sel:[1,0]
	s_mov_b32 s5, 0xb1e13b29
	v_pk_add_f16 v14, v29, v14
	v_pk_fma_f16 v29, v58, s15, v169 op_sel_hi:[0,1,1]
	v_pk_fma_f16 v140, v142, s27, v170 op_sel:[0,0,1] op_sel_hi:[1,1,0] neg_lo:[1,0,0] neg_hi:[1,0,0]
	s_mov_b32 s16, 0xbbdd3722
	v_pk_mul_f16 v170, v142, s5 op_sel:[1,0]
	s_mov_b32 s5, 0x3964bbb2
	;; [unrolled: 6-line block ×3, first 2 shown]
	v_pk_add_f16 v14, v29, v14
	v_pk_fma_f16 v29, v73, s17, v171 op_sel_hi:[0,1,1]
	s_mov_b32 s18, 0xb4612de8
	v_pk_mul_f16 v172, v163, s5 op_sel:[1,0]
	v_pk_add_f16 v14, v29, v14
	v_pk_fma_f16 v29, v84, s18, v172 op_sel_hi:[0,1,1]
	v_mul_f16_e32 v173, 0x3bf7, v163
	v_pk_add_f16 v39, v29, v14
	v_fma_f16 v14, v164, s4, -v173
	v_add_f16_e32 v37, v14, v147
	v_pk_fma_f16 v147, v45, s19, v175 neg_lo:[0,0,1] neg_hi:[0,0,1]
	v_add_f16_sdwa v14, v131, v0 dst_sel:DWORD dst_unused:UNUSED_PAD src0_sel:DWORD src1_sel:WORD_1
	v_add_f16_e32 v14, v147, v14
	v_add_f16_e32 v14, v133, v14
	;; [unrolled: 1-line block ×4, first 2 shown]
	s_movk_i32 s4, 0x3b29
	v_add_f16_e32 v14, v140, v14
	v_pk_fma_f16 v146, v163, s31, v176 op_sel:[0,0,1] op_sel_hi:[1,1,0] neg_lo:[1,0,0] neg_hi:[1,0,0]
	v_add_f16_e32 v14, v142, v14
	v_mul_f16_sdwa v163, v163, s4 dst_sel:DWORD dst_unused:UNUSED_PAD src0_sel:WORD_1 src1_sel:DWORD
	v_add_f16_e32 v38, v146, v14
	v_fma_f16 v14, v84, s11, v163
	v_add_f16_e32 v14, v14, v174
	v_mul_lo_u16_e32 v29, 17, v25
	s_barrier
	s_and_saveexec_b64 s[4:5], vcc
	s_cbranch_execz .LBB0_7
; %bb.6:
	v_mul_f16_e32 v179, 0x2de8, v42
	v_mul_f16_e32 v181, 0xb461, v42
	;; [unrolled: 1-line block ×3, first 2 shown]
	v_sub_f16_e32 v22, v179, v22
	v_mul_f16_e32 v192, 0xbacd, v53
	v_mul_f16_e32 v201, 0xb461, v49
	v_sub_f16_e32 v24, v181, v24
	v_add_f16_e32 v22, v22, v0
	v_sub_f16_e32 v23, v190, v23
	v_mul_f16_e32 v203, 0x39e9, v49
	v_mul_f16_e32 v212, 0x3b76, v52
	v_add_f16_e32 v24, v24, v0
	v_sub_f16_e32 v40, v192, v40
	v_add_f16_e32 v22, v23, v22
	v_sub_f16_e32 v23, v201, v41
	v_mul_f16_e32 v176, 0x39e9, v143
	v_mul_f16_e32 v178, 0x3722, v143
	;; [unrolled: 1-line block ×9, first 2 shown]
	v_add_f16_e32 v24, v40, v24
	v_sub_f16_e32 v40, v203, v43
	v_add_f16_e32 v22, v23, v22
	v_sub_f16_e32 v23, v212, v44
	v_mul_f16_e32 v196, 0x3b76, v45
	v_mul_f16_e32 v225, 0xbbdd, v58
	;; [unrolled: 1-line block ×3, first 2 shown]
	v_add_f16_e32 v126, v126, v143
	v_add_f16_e32 v24, v40, v24
	v_sub_f16_e32 v40, v214, v47
	v_add_f16_e32 v22, v23, v22
	v_sub_f16_e32 v23, v223, v48
	v_mul_f16_e32 v198, 0xb8d2, v151
	v_mul_f16_e32 v200, 0xbbdd, v151
	;; [unrolled: 1-line block ×9, first 2 shown]
	v_add_f16_e32 v127, v127, v196
	v_add_f16_sdwa v126, v126, v0 dst_sel:DWORD dst_unused:UNUSED_PAD src0_sel:DWORD src1_sel:WORD_1
	v_add_f16_e32 v24, v40, v24
	v_sub_f16_e32 v40, v225, v50
	v_add_f16_e32 v22, v23, v22
	v_sub_f16_e32 v23, v234, v51
	v_mul_f16_e32 v209, 0xbbdd, v155
	v_mul_f16_e32 v211, 0xb461, v155
	;; [unrolled: 1-line block ×8, first 2 shown]
	v_add_f16_e32 v126, v127, v126
	v_mul_f16_e32 v127, 0x39e9, v84
	v_add_f16_e32 v135, v135, v151
	v_add_f16_e32 v24, v40, v24
	v_sub_f16_e32 v40, v236, v54
	v_add_f16_e32 v22, v23, v22
	v_sub_f16_e32 v23, v245, v55
	v_mul_f16_e32 v220, 0xbacd, v157
	v_mul_f16_e32 v222, 0x39e9, v157
	;; [unrolled: 1-line block ×7, first 2 shown]
	v_add_f16_e32 v126, v135, v126
	v_mul_f16_e32 v135, 0xb8d2, v84
	v_add_f16_e32 v145, v145, v155
	v_add_f16_e32 v24, v40, v24
	v_sub_f16_e32 v40, v247, v59
	v_add_f16_e32 v22, v23, v22
	v_sub_f16_e32 v23, v127, v62
	v_mul_f16_e32 v189, 0xb8d2, v45
	v_mul_f16_e32 v231, 0xb461, v160
	;; [unrolled: 1-line block ×8, first 2 shown]
	v_add_f16_e32 v126, v145, v126
	v_add_f16_e32 v152, v152, v157
	;; [unrolled: 1-line block ×3, first 2 shown]
	v_sub_f16_e32 v40, v135, v70
	v_add_f16_e32 v22, v23, v22
	v_add_f16_e32 v23, v67, v178
	v_mul_f16_e32 v191, 0xbbdd, v45
	v_mul_f16_e32 v242, 0x3722, v161
	;; [unrolled: 1-line block ×8, first 2 shown]
	v_add_f16_e32 v126, v152, v126
	v_add_f16_e32 v156, v156, v160
	;; [unrolled: 1-line block ×4, first 2 shown]
	v_add_f16_sdwa v23, v23, v0 dst_sel:DWORD dst_unused:UNUSED_PAD src0_sel:DWORD src1_sel:WORD_1
	v_add_f16_e32 v41, v68, v189
	v_mul_f16_e32 v175, 0x3b76, v42
	v_mul_f16_e32 v177, 0x3722, v42
	;; [unrolled: 1-line block ×10, first 2 shown]
	v_pk_mul_f16 v42, v42, s8 op_sel_hi:[0,1]
	v_add_f16_e32 v126, v156, v126
	v_add_f16_e32 v156, v158, v161
	v_add_f16_sdwa v40, v40, v0 dst_sel:DWORD dst_unused:UNUSED_PAD src0_sel:DWORD src1_sel:WORD_1
	v_add_f16_e32 v43, v75, v191
	v_add_f16_e32 v23, v41, v23
	;; [unrolled: 1-line block ×3, first 2 shown]
	v_alignbit_b32 v174, v0, v0, 16
	v_mul_f16_e32 v187, 0x2de8, v45
	v_mul_f16_e32 v193, 0xbacd, v45
	;; [unrolled: 1-line block ×4, first 2 shown]
	v_pk_mul_f16 v45, v45, s9 op_sel:[1,0]
	v_add_f16_e32 v126, v156, v126
	v_add_f16_e32 v156, v173, v164
	v_pk_add_f16 v42, v42, v165 neg_lo:[0,1] neg_hi:[0,1]
	v_add_f16_e32 v40, v43, v40
	v_add_f16_e32 v43, v86, v202
	;; [unrolled: 1-line block ×4, first 2 shown]
	v_mul_f16_e32 v197, 0x3722, v49
	v_mul_f16_e32 v199, 0xbbdd, v49
	v_mul_f16_e32 v205, 0x3b76, v49
	v_pk_mul_f16 v49, v49, s10 op_sel_hi:[0,1]
	v_add_f16_e32 v126, v156, v126
	v_pk_add_f16 v45, v45, v166 neg_lo:[0,1] neg_hi:[0,1]
	v_add_f16_sdwa v156, v42, v174 dst_sel:DWORD dst_unused:UNUSED_PAD src0_sel:DWORD src1_sel:WORD_1
	v_add_f16_sdwa v42, v42, v174 dst_sel:DWORD dst_unused:UNUSED_PAD src0_sel:WORD_1 src1_sel:WORD_1
	v_add_f16_e32 v40, v43, v40
	v_add_f16_e32 v43, v93, v213
	;; [unrolled: 1-line block ×4, first 2 shown]
	v_pk_add_f16 v49, v49, v167 neg_lo:[0,1] neg_hi:[0,1]
	v_add_f16_e32 v156, v45, v156
	v_add_f16_sdwa v42, v45, v42 dst_sel:DWORD dst_unused:UNUSED_PAD src0_sel:WORD_1 src1_sel:DWORD
	v_add_f16_e32 v45, v96, v184
	v_add_f16_e32 v40, v43, v40
	;; [unrolled: 1-line block ×6, first 2 shown]
	v_add_f16_sdwa v42, v49, v42 dst_sel:DWORD dst_unused:UNUSED_PAD src0_sel:WORD_1 src1_sel:DWORD
	v_add_f16_sdwa v45, v45, v0 dst_sel:DWORD dst_unused:UNUSED_PAD src0_sel:DWORD src1_sel:WORD_1
	v_add_f16_e32 v49, v97, v194
	v_add_f16_e32 v40, v43, v40
	;; [unrolled: 1-line block ×11, first 2 shown]
	v_mul_f16_e32 v188, 0xb8d2, v53
	v_add_f16_e32 v45, v49, v45
	v_add_f16_e32 v49, v120, v217
	;; [unrolled: 1-line block ×5, first 2 shown]
	v_sub_f16_e32 v41, v177, v63
	v_alignbit_b32 v46, v46, v46, 16
	v_add_f16_e32 v45, v49, v45
	v_add_f16_e32 v49, v130, v228
	;; [unrolled: 1-line block ×4, first 2 shown]
	v_sub_f16_e32 v43, v188, v64
	v_pk_add_f16 v1, v1, v174 op_sel:[0,1] op_sel_hi:[1,0]
	v_mul_f16_e32 v210, 0xb461, v52
	v_add_f16_e32 v45, v49, v45
	v_add_f16_e32 v49, v141, v239
	;; [unrolled: 1-line block ×3, first 2 shown]
	v_sub_f16_e32 v43, v199, v72
	v_pk_add_f16 v1, v46, v1
	v_mul_f16_e32 v221, 0x39e9, v58
	v_add_f16_e32 v45, v49, v45
	v_add_f16_e32 v49, v150, v250
	;; [unrolled: 1-line block ×3, first 2 shown]
	v_sub_f16_e32 v43, v210, v79
	v_pk_add_f16 v1, v13, v1
	v_mul_f16_e32 v208, 0x2de8, v52
	v_mul_f16_e32 v216, 0xbacd, v52
	;; [unrolled: 1-line block ×3, first 2 shown]
	v_pk_mul_f16 v52, v52, s14 op_sel_hi:[0,1]
	v_add_f16_e32 v45, v49, v45
	v_add_f16_e32 v49, v159, v157
	;; [unrolled: 1-line block ×3, first 2 shown]
	v_sub_f16_e32 v43, v221, v87
	v_pk_add_f16 v1, v19, v1
	v_mul_f16_e32 v186, 0x39e9, v53
	v_mul_f16_e32 v53, 0xb461, v53
	;; [unrolled: 1-line block ×3, first 2 shown]
	v_pk_add_f16 v52, v52, v168 neg_lo:[0,1] neg_hi:[0,1]
	v_add_f16_e32 v45, v49, v45
	v_sub_f16_e32 v49, v183, v88
	v_add_f16_e32 v41, v43, v41
	v_sub_f16_e32 v43, v232, v94
	v_pk_add_f16 v1, v20, v1
	v_mul_f16_e32 v143, 0xbacd, v84
	v_add_f16_e32 v156, v52, v156
	v_add_f16_sdwa v42, v52, v42 dst_sel:DWORD dst_unused:UNUSED_PAD src0_sel:WORD_1 src1_sel:DWORD
	v_add_f16_e32 v49, v49, v0
	v_sub_f16_e32 v52, v53, v91
	v_add_f16_e32 v41, v43, v41
	v_sub_f16_e32 v43, v243, v103
	v_pk_add_f16 v1, v17, v1
	v_add_f16_e32 v49, v52, v49
	v_sub_f16_e32 v52, v205, v101
	v_add_f16_e32 v41, v43, v41
	v_sub_f16_e32 v43, v143, v128
	v_pk_add_f16 v1, v18, v1
	v_mul_f16_e32 v227, 0x2de8, v58
	v_add_f16_e32 v49, v52, v49
	v_sub_f16_e32 v52, v216, v109
	v_add_f16_e32 v41, v43, v41
	v_add_f16_e32 v43, v60, v176
	v_pk_add_f16 v1, v15, v1
	v_mul_f16_e32 v238, 0x39e9, v66
	v_add_f16_e32 v49, v52, v49
	v_sub_f16_e32 v52, v227, v122
	v_add_f16_sdwa v43, v43, v0 dst_sel:DWORD dst_unused:UNUSED_PAD src0_sel:DWORD src1_sel:WORD_1
	v_add_f16_e32 v44, v61, v187
	v_pk_add_f16 v1, v16, v1
	v_mul_f16_e32 v249, 0xbbdd, v73
	v_add_f16_e32 v49, v52, v49
	v_sub_f16_e32 v52, v238, v132
	v_add_f16_e32 v43, v44, v43
	v_add_f16_e32 v44, v69, v198
	v_pk_add_f16 v1, v6, v1
	v_mul_f16_e32 v145, 0x3722, v84
	v_add_f16_e32 v49, v52, v49
	v_sub_f16_e32 v52, v249, v144
	v_add_f16_e32 v43, v44, v43
	v_add_f16_e32 v44, v76, v209
	v_pk_add_f16 v1, v7, v1
	v_add_f16_e32 v49, v52, v49
	v_sub_f16_e32 v52, v145, v163
	v_add_f16_e32 v43, v44, v43
	v_add_f16_e32 v44, v80, v220
	v_pk_add_f16 v1, v4, v1
	v_add_f16_e32 v49, v52, v49
	v_add_f16_e32 v52, v82, v182
	;; [unrolled: 1-line block ×4, first 2 shown]
	v_pk_add_f16 v1, v5, v1
	v_add_f16_sdwa v52, v52, v0 dst_sel:DWORD dst_unused:UNUSED_PAD src0_sel:DWORD src1_sel:WORD_1
	v_add_f16_e32 v53, v83, v193
	v_add_f16_e32 v43, v44, v43
	;; [unrolled: 1-line block ×3, first 2 shown]
	v_pk_add_f16 v1, v2, v1
	v_add_f16_e32 v52, v53, v52
	v_add_f16_e32 v53, v95, v204
	;; [unrolled: 1-line block ×4, first 2 shown]
	s_mov_b32 s8, 0xffff
	v_pk_add_f16 v1, v3, v1
	v_add_f16_e32 v105, v105, v185
	v_add_f16_e32 v52, v53, v52
	v_add_f16_e32 v53, v104, v215
	v_add_f16_e32 v43, v44, v43
	v_bfi_b32 v44, s8, v110, v131
	v_sub_f16_e32 v56, v175, v56
	v_add_lshl_u32 v13, v27, v29, 2
	v_pk_add_f16 v1, v21, v1
	v_add_f16_sdwa v105, v105, v0 dst_sel:DWORD dst_unused:UNUSED_PAD src0_sel:DWORD src1_sel:WORD_1
	v_add_f16_e32 v52, v53, v52
	v_add_f16_e32 v53, v116, v226
	v_bfi_b32 v47, s8, v111, v147
	v_add_f16_e32 v0, v56, v0
	v_sub_f16_e32 v56, v186, v57
	ds_write_b32 v13, v1
	v_pk_add_f16 v1, v44, v174
	v_add_f16_e32 v52, v53, v52
	v_add_f16_e32 v53, v125, v237
	v_bfi_b32 v48, s8, v113, v133
	v_add_f16_e32 v0, v56, v0
	v_sub_f16_e32 v56, v197, v65
	v_pk_add_f16 v1, v47, v1
	v_mul_f16_e32 v219, 0xb461, v58
	v_add_f16_e32 v52, v53, v52
	v_add_f16_e32 v53, v137, v248
	v_bfi_b32 v50, s8, v114, v134
	v_add_f16_e32 v0, v56, v0
	v_sub_f16_e32 v56, v208, v71
	v_pk_add_f16 v1, v48, v1
	v_mul_f16_e32 v230, 0xb8d2, v66
	v_add_f16_e32 v106, v106, v195
	v_add_f16_e32 v52, v53, v52
	;; [unrolled: 1-line block ×3, first 2 shown]
	v_bfi_b32 v51, s8, v115, v138
	v_add_f16_e32 v0, v56, v0
	v_sub_f16_e32 v56, v219, v77
	v_pk_add_f16 v1, v50, v1
	v_mul_f16_e32 v241, 0xbacd, v73
	v_add_f16_e32 v105, v106, v105
	v_add_f16_e32 v106, v119, v207
	;; [unrolled: 1-line block ×3, first 2 shown]
	v_bfi_b32 v53, s8, v117, v140
	v_add_f16_e32 v0, v56, v0
	v_sub_f16_e32 v56, v230, v81
	v_pk_add_f16 v1, v51, v1
	v_mul_f16_e32 v252, 0xbbdd, v84
	v_pk_mul_f16 v58, v58, s15 op_sel_hi:[0,1]
	v_add_f16_e32 v105, v106, v105
	v_add_f16_e32 v106, v129, v218
	v_bfi_b32 v54, s8, v118, v142
	v_add_f16_e32 v0, v56, v0
	v_sub_f16_e32 v56, v241, v90
	v_pk_add_f16 v1, v53, v1
	v_pk_mul_f16 v66, v66, s16 op_sel_hi:[0,1]
	v_pk_add_f16 v58, v58, v169 neg_lo:[0,1] neg_hi:[0,1]
	v_add_f16_e32 v105, v106, v105
	v_add_f16_e32 v106, v139, v229
	v_bfi_b32 v55, s8, v121, v146
	v_add_f16_e32 v0, v56, v0
	v_sub_f16_e32 v56, v252, v99
	v_pk_add_f16 v1, v54, v1
	v_pk_mul_f16 v73, v73, s17 op_sel_hi:[0,1]
	v_pk_add_f16 v66, v66, v170 neg_lo:[0,1] neg_hi:[0,1]
	v_add_f16_e32 v156, v58, v156
	v_add_f16_e32 v105, v106, v105
	;; [unrolled: 1-line block ×3, first 2 shown]
	v_add_f16_sdwa v42, v58, v42 dst_sel:DWORD dst_unused:UNUSED_PAD src0_sel:WORD_1 src1_sel:DWORD
	v_add_f16_e32 v0, v56, v0
	v_pk_add_f16 v1, v55, v1
	v_pk_mul_f16 v84, v84, s18 op_sel_hi:[0,1]
	v_pk_add_f16 v73, v73, v171 neg_lo:[0,1] neg_hi:[0,1]
	v_add_f16_e32 v156, v66, v156
	v_add_f16_e32 v105, v106, v105
	;; [unrolled: 1-line block ×3, first 2 shown]
	v_add_f16_sdwa v42, v66, v42 dst_sel:DWORD dst_unused:UNUSED_PAD src0_sel:WORD_1 src1_sel:DWORD
	v_alignbit_b32 v2, v43, v1, 16
	v_pack_b32_f16 v0, v0, v1
	v_pk_add_f16 v84, v84, v172 neg_lo:[0,1] neg_hi:[0,1]
	v_add_f16_e32 v156, v73, v156
	v_add_f16_e32 v105, v106, v105
	;; [unrolled: 1-line block ×3, first 2 shown]
	v_add_f16_sdwa v42, v73, v42 dst_sel:DWORD dst_unused:UNUSED_PAD src0_sel:WORD_1 src1_sel:DWORD
	ds_write2_b32 v13, v0, v2 offset0:1 offset1:2
	v_pack_b32_f16 v0, v22, v40
	v_pack_b32_f16 v1, v41, v23
	v_add_f16_e32 v156, v84, v156
	v_add_f16_e32 v105, v106, v105
	v_add_f16_sdwa v42, v84, v42 dst_sel:DWORD dst_unused:UNUSED_PAD src0_sel:WORD_1 src1_sel:DWORD
	ds_write2_b32 v13, v1, v0 offset0:3 offset1:4
	v_pack_b32_f16 v0, v49, v45
	v_pack_b32_f16 v1, v24, v52
	ds_write2_b32 v13, v1, v0 offset0:5 offset1:6
	v_pack_b32_f16 v0, v156, v126
	v_pack_b32_f16 v1, v42, v105
	s_mov_b32 s8, 0x5040100
	ds_write2_b32 v13, v1, v0 offset0:7 offset1:8
	v_perm_b32 v0, v37, v39, s8
	v_alignbit_b32 v1, v33, v39, 16
	ds_write2_b32 v13, v0, v1 offset0:9 offset1:10
	v_perm_b32 v0, v36, v9, s8
	v_perm_b32 v1, v35, v14, s8
	ds_write2_b32 v13, v1, v0 offset0:11 offset1:12
	v_perm_b32 v0, v32, v11, s8
	v_perm_b32 v1, v34, v10, s8
	;; [unrolled: 3-line block ×3, first 2 shown]
	ds_write2_b32 v13, v1, v0 offset0:15 offset1:16
.LBB0_7:
	s_or_b64 exec, exec, s[4:5]
	v_lshlrev_b32_e32 v13, 5, v25
	s_load_dwordx4 s[8:11], s[2:3], 0x0
	s_waitcnt lgkmcnt(0)
	s_barrier
	global_load_dwordx4 v[0:3], v13, s[0:1]
	global_load_dwordx4 v[4:7], v13, s[0:1] offset:16
	v_add_lshl_u32 v40, v27, v25, 2
	ds_read2_b32 v[20:21], v40 offset1:17
	ds_read2_b32 v[15:16], v40 offset0:34 offset1:51
	ds_read2_b32 v[17:18], v40 offset0:68 offset1:85
	ds_read2_b32 v[22:23], v40 offset0:102 offset1:119
	ds_read_b32 v13, v40 offset:544
	s_waitcnt lgkmcnt(4)
	v_lshrrev_b32_e32 v19, 16, v21
	s_waitcnt lgkmcnt(3)
	v_lshrrev_b32_e32 v41, 16, v15
	v_lshrrev_b32_e32 v42, 16, v16
	s_waitcnt lgkmcnt(2)
	v_lshrrev_b32_e32 v43, 16, v17
	s_waitcnt lgkmcnt(0)
	v_lshrrev_b32_e32 v47, 16, v13
	v_lshrrev_b32_e32 v44, 16, v18
	;; [unrolled: 1-line block ×4, first 2 shown]
	s_movk_i32 s3, 0x3a21
	s_movk_i32 s0, 0x3be1
	;; [unrolled: 1-line block ×3, first 2 shown]
	v_lshrrev_b32_e32 v24, 16, v20
	s_movk_i32 s1, 0x3aee
	s_movk_i32 s2, 0x3579
	s_mov_b32 s5, 0xbb84
	s_mov_b32 s14, 0xb924
	s_waitcnt vmcnt(1)
	v_mul_f16_sdwa v48, v19, v0 dst_sel:DWORD dst_unused:UNUSED_PAD src0_sel:DWORD src1_sel:WORD_1
	v_mul_f16_sdwa v49, v21, v0 dst_sel:DWORD dst_unused:UNUSED_PAD src0_sel:DWORD src1_sel:WORD_1
	;; [unrolled: 1-line block ×4, first 2 shown]
	s_waitcnt vmcnt(0)
	v_mul_f16_sdwa v62, v47, v7 dst_sel:DWORD dst_unused:UNUSED_PAD src0_sel:DWORD src1_sel:WORD_1
	v_mul_f16_sdwa v63, v13, v7 dst_sel:DWORD dst_unused:UNUSED_PAD src0_sel:DWORD src1_sel:WORD_1
	;; [unrolled: 1-line block ×11, first 2 shown]
	v_fma_f16 v21, v21, v0, -v48
	v_fma_f16 v19, v19, v0, v49
	v_fma_f16 v15, v15, v1, -v50
	v_fma_f16 v50, v43, v3, v55
	;; [unrolled: 2-line block ×3, first 2 shown]
	v_mul_f16_sdwa v57, v18, v4 dst_sel:DWORD dst_unused:UNUSED_PAD src0_sel:DWORD src1_sel:WORD_1
	v_fma_f16 v41, v41, v1, v51
	v_fma_f16 v16, v16, v2, -v52
	v_fma_f16 v42, v42, v2, v53
	v_fma_f16 v49, v17, v3, -v54
	v_fma_f16 v51, v18, v4, -v56
	v_fma_f16 v17, v22, v5, -v58
	v_fma_f16 v18, v45, v5, v59
	v_fma_f16 v22, v23, v6, -v60
	v_fma_f16 v23, v46, v6, v61
	v_add_f16_e32 v53, v21, v13
	v_sub_f16_e32 v13, v21, v13
	v_sub_f16_e32 v59, v19, v43
	v_fma_f16 v52, v44, v4, v57
	v_add_f16_e32 v54, v19, v43
	v_add_f16_e32 v55, v15, v22
	;; [unrolled: 1-line block ×5, first 2 shown]
	v_sub_f16_e32 v15, v15, v22
	v_sub_f16_e32 v23, v41, v23
	v_sub_f16_e32 v41, v16, v17
	v_sub_f16_e32 v42, v42, v18
	v_mul_f16_e32 v16, 0x3924, v13
	v_mul_f16_e32 v17, 0x3924, v59
	v_fma_f16 v18, v53, s3, v20
	v_fma_f16 v19, v54, s3, v24
	v_fma_f16 v16, v15, s0, v16
	v_fma_f16 v17, v23, s0, v17
	v_fma_f16 v18, v55, s4, v18
	v_sub_f16_e32 v60, v49, v51
	v_sub_f16_e32 v61, v50, v52
	v_add_f16_e32 v62, v49, v51
	v_fma_f16 v19, v56, s4, v19
	v_fma_f16 v16, v41, s1, v16
	;; [unrolled: 1-line block ×3, first 2 shown]
	v_fma_f16 v18, v57, -0.5, v18
	v_fma_f16 v19, v58, -0.5, v19
	v_fma_f16 v21, v60, s2, v16
	v_fma_f16 v17, v61, s2, v17
	v_add_f16_e32 v63, v50, v52
	v_fma_f16 v16, v62, s5, v18
	v_fma_f16 v18, v63, s5, v19
	v_add_f16_e32 v16, v17, v16
	v_sub_f16_e32 v43, v18, v21
	v_fma_f16 v19, v17, -2.0, v16
	v_mul_f16_e32 v17, 0xb924, v60
	v_mul_f16_e32 v18, 0xb924, v61
	v_fma_f16 v17, v13, s0, v17
	v_fma_f16 v18, v59, s0, v18
	s_mov_b32 s0, 0xbaee
	v_fma_f16 v17, v41, s0, v17
	v_fma_f16 v44, v21, 2.0, v43
	v_fma_f16 v21, v15, s2, v17
	v_fma_f16 v17, v62, s3, v20
	;; [unrolled: 1-line block ×6, first 2 shown]
	v_fma_f16 v17, v57, -0.5, v17
	v_fma_f16 v22, v58, -0.5, v22
	v_fma_f16 v18, v23, s2, v18
	v_fma_f16 v17, v55, s5, v17
	;; [unrolled: 1-line block ×3, first 2 shown]
	v_add_f16_e32 v17, v18, v17
	v_sub_f16_e32 v45, v22, v21
	v_fma_f16 v22, v18, -2.0, v17
	v_fma_f16 v46, v21, 2.0, v45
	v_add_f16_e32 v18, v60, v13
	v_add_f16_e32 v21, v61, v59
	v_mul_f16_e32 v60, 0x3be1, v60
	v_mul_f16_e32 v61, 0x3be1, v61
	v_sub_f16_e32 v47, v18, v15
	v_sub_f16_e32 v18, v21, v23
	v_fma_f16 v15, v15, s14, -v60
	v_fma_f16 v23, v23, s14, -v61
	v_add_f16_e32 v66, v55, v53
	v_add_f16_e32 v67, v56, v54
	v_fma_f16 v15, v41, s1, v15
	v_fma_f16 v23, v42, s1, v23
	;; [unrolled: 1-line block ×4, first 2 shown]
	v_add_f16_e32 v15, v57, v66
	v_add_f16_e32 v23, v58, v67
	;; [unrolled: 1-line block ×9, first 2 shown]
	v_fma_f16 v20, v55, s3, v20
	v_fma_f16 v23, v56, s3, v24
	v_fma_f16 v20, v62, s4, v20
	v_fma_f16 v23, v63, s4, v23
	v_fma_f16 v20, v57, -0.5, v20
	v_fma_f16 v23, v58, -0.5, v23
	v_add_f16_e32 v65, v58, v24
	v_add_f16_e32 v68, v62, v66
	;; [unrolled: 1-line block ×3, first 2 shown]
	v_fma_f16 v20, v53, s5, v20
	v_fma_f16 v24, v54, s5, v23
	v_fma_f16 v64, v68, -0.5, v64
	v_fma_f16 v65, v69, -0.5, v65
	v_add_f16_e32 v23, v41, v20
	v_sub_f16_e32 v49, v24, v13
	v_mul_f16_e32 v48, 0x3aee, v47
	v_mul_f16_e32 v21, 0x3aee, v18
	v_fma_f16 v18, v18, s1, v64
	v_fma_f16 v47, v47, s0, v65
	v_fma_f16 v24, v41, -2.0, v23
	v_fma_f16 v50, v13, 2.0, v49
	v_lshl_add_u32 v41, v25, 2, v28
	v_pack_b32_f16 v13, v15, v42
	v_pack_b32_f16 v20, v16, v43
	ds_write2_b32 v41, v13, v20 offset1:17
	v_pack_b32_f16 v13, v17, v45
	v_pack_b32_f16 v20, v18, v47
	v_fma_f16 v21, v21, -2.0, v18
	v_fma_f16 v48, v48, 2.0, v47
	ds_write2_b32 v41, v13, v20 offset0:34 offset1:51
	v_pack_b32_f16 v13, v23, v49
	v_pack_b32_f16 v20, v24, v50
	ds_write2_b32 v41, v13, v20 offset0:68 offset1:85
	v_pack_b32_f16 v13, v21, v48
	v_pack_b32_f16 v20, v22, v46
	ds_write2_b32 v41, v13, v20 offset0:102 offset1:119
	v_pack_b32_f16 v13, v19, v44
	ds_write_b32 v41, v13 offset:544
	s_waitcnt lgkmcnt(0)
	s_barrier
	s_and_saveexec_b64 s[0:1], vcc
	s_cbranch_execz .LBB0_9
; %bb.8:
	global_load_dword v13, v26, s[6:7] offset:612
	s_add_u32 s2, s6, 0x264
	s_addc_u32 s3, s7, 0
	global_load_dword v20, v26, s[2:3] offset:36
	global_load_dword v63, v26, s[2:3] offset:72
	;; [unrolled: 1-line block ×10, first 2 shown]
	ds_read2_b32 v[51:52], v41 offset1:9
	ds_read2_b32 v[53:54], v41 offset0:18 offset1:27
	ds_read2_b32 v[55:56], v41 offset0:36 offset1:45
	;; [unrolled: 1-line block ×3, first 2 shown]
	global_load_dword v72, v26, s[2:3] offset:396
	ds_read2_b32 v[59:60], v41 offset0:72 offset1:81
	ds_read2_b32 v[61:62], v41 offset0:90 offset1:99
	global_load_dword v73, v26, s[2:3] offset:432
	global_load_dword v74, v26, s[2:3] offset:468
	;; [unrolled: 1-line block ×5, first 2 shown]
	s_waitcnt lgkmcnt(5)
	v_lshrrev_b32_e32 v78, 16, v51
	v_lshrrev_b32_e32 v79, 16, v52
	s_waitcnt lgkmcnt(4)
	v_lshrrev_b32_e32 v80, 16, v53
	v_lshrrev_b32_e32 v81, 16, v54
	;; [unrolled: 3-line block ×5, first 2 shown]
	s_waitcnt vmcnt(13)
	v_mul_f16_sdwa v90, v81, v64 dst_sel:DWORD dst_unused:UNUSED_PAD src0_sel:DWORD src1_sel:WORD_1
	v_mul_f16_sdwa v91, v54, v64 dst_sel:DWORD dst_unused:UNUSED_PAD src0_sel:DWORD src1_sel:WORD_1
	s_waitcnt vmcnt(12)
	v_mul_f16_sdwa v92, v82, v65 dst_sel:DWORD dst_unused:UNUSED_PAD src0_sel:DWORD src1_sel:WORD_1
	v_mul_f16_sdwa v93, v55, v65 dst_sel:DWORD dst_unused:UNUSED_PAD src0_sel:DWORD src1_sel:WORD_1
	;; [unrolled: 1-line block ×4, first 2 shown]
	v_fma_f16 v51, v51, v13, -v88
	v_fma_f16 v13, v78, v13, v89
	v_pack_b32_f16 v13, v51, v13
	v_mul_f16_sdwa v51, v79, v20 dst_sel:DWORD dst_unused:UNUSED_PAD src0_sel:DWORD src1_sel:WORD_1
	v_mul_f16_sdwa v78, v52, v20 dst_sel:DWORD dst_unused:UNUSED_PAD src0_sel:DWORD src1_sel:WORD_1
	;; [unrolled: 1-line block ×4, first 2 shown]
	s_waitcnt vmcnt(11)
	v_mul_f16_sdwa v94, v83, v66 dst_sel:DWORD dst_unused:UNUSED_PAD src0_sel:DWORD src1_sel:WORD_1
	v_mul_f16_sdwa v95, v56, v66 dst_sel:DWORD dst_unused:UNUSED_PAD src0_sel:DWORD src1_sel:WORD_1
	s_waitcnt vmcnt(10)
	v_mul_f16_sdwa v96, v84, v67 dst_sel:DWORD dst_unused:UNUSED_PAD src0_sel:DWORD src1_sel:WORD_1
	v_mul_f16_sdwa v97, v57, v67 dst_sel:DWORD dst_unused:UNUSED_PAD src0_sel:DWORD src1_sel:WORD_1
	;; [unrolled: 3-line block ×3, first 2 shown]
	v_fma_f16 v51, v52, v20, -v51
	v_fma_f16 v20, v79, v20, v78
	v_fma_f16 v52, v53, v63, -v88
	v_fma_f16 v53, v80, v63, v89
	;; [unrolled: 2-line block ×7, first 2 shown]
	v_pack_b32_f16 v20, v51, v20
	s_waitcnt vmcnt(8)
	v_mul_f16_sdwa v100, v86, v69 dst_sel:DWORD dst_unused:UNUSED_PAD src0_sel:DWORD src1_sel:WORD_1
	v_mul_f16_sdwa v101, v59, v69 dst_sel:DWORD dst_unused:UNUSED_PAD src0_sel:DWORD src1_sel:WORD_1
	s_waitcnt vmcnt(7)
	v_mul_f16_sdwa v102, v87, v70 dst_sel:DWORD dst_unused:UNUSED_PAD src0_sel:DWORD src1_sel:WORD_1
	v_pack_b32_f16 v51, v52, v53
	v_pack_b32_f16 v52, v54, v63
	;; [unrolled: 1-line block ×6, first 2 shown]
	ds_write2_b32 v41, v13, v20 offset1:9
	ds_write2_b32 v41, v51, v52 offset0:18 offset1:27
	ds_write2_b32 v41, v53, v54 offset0:36 offset1:45
	;; [unrolled: 1-line block ×3, first 2 shown]
	v_mul_f16_sdwa v13, v60, v70 dst_sel:DWORD dst_unused:UNUSED_PAD src0_sel:DWORD src1_sel:WORD_1
	v_fma_f16 v59, v59, v69, -v100
	v_fma_f16 v68, v86, v69, v101
	v_fma_f16 v69, v60, v70, -v102
	v_fma_f16 v13, v87, v70, v13
	v_pack_b32_f16 v57, v59, v68
	v_pack_b32_f16 v13, v69, v13
	ds_write2_b32 v41, v57, v13 offset0:72 offset1:81
	s_waitcnt lgkmcnt(5)
	v_lshrrev_b32_e32 v13, 16, v61
	s_waitcnt vmcnt(6)
	v_mul_f16_sdwa v20, v13, v71 dst_sel:DWORD dst_unused:UNUSED_PAD src0_sel:DWORD src1_sel:WORD_1
	v_mul_f16_sdwa v51, v61, v71 dst_sel:DWORD dst_unused:UNUSED_PAD src0_sel:DWORD src1_sel:WORD_1
	v_fma_f16 v20, v61, v71, -v20
	v_fma_f16 v13, v13, v71, v51
	v_pack_b32_f16 v13, v20, v13
	v_lshrrev_b32_e32 v20, 16, v62
	s_waitcnt vmcnt(5)
	v_mul_f16_sdwa v51, v20, v72 dst_sel:DWORD dst_unused:UNUSED_PAD src0_sel:DWORD src1_sel:WORD_1
	v_fma_f16 v53, v62, v72, -v51
	ds_read2_b32 v[51:52], v41 offset0:108 offset1:117
	v_mul_f16_sdwa v54, v62, v72 dst_sel:DWORD dst_unused:UNUSED_PAD src0_sel:DWORD src1_sel:WORD_1
	v_fma_f16 v20, v20, v72, v54
	v_pack_b32_f16 v20, v53, v20
	ds_write2_b32 v41, v13, v20 offset0:90 offset1:99
	s_waitcnt lgkmcnt(1)
	v_lshrrev_b32_e32 v13, 16, v51
	s_waitcnt vmcnt(4)
	v_mul_f16_sdwa v20, v13, v73 dst_sel:DWORD dst_unused:UNUSED_PAD src0_sel:DWORD src1_sel:WORD_1
	v_fma_f16 v20, v51, v73, -v20
	v_mul_f16_sdwa v51, v51, v73 dst_sel:DWORD dst_unused:UNUSED_PAD src0_sel:DWORD src1_sel:WORD_1
	v_fma_f16 v13, v13, v73, v51
	v_pack_b32_f16 v13, v20, v13
	v_lshrrev_b32_e32 v20, 16, v52
	ds_read2_b32 v[53:54], v41 offset0:126 offset1:135
	s_waitcnt vmcnt(3)
	v_mul_f16_sdwa v51, v20, v74 dst_sel:DWORD dst_unused:UNUSED_PAD src0_sel:DWORD src1_sel:WORD_1
	v_fma_f16 v51, v52, v74, -v51
	v_mul_f16_sdwa v52, v52, v74 dst_sel:DWORD dst_unused:UNUSED_PAD src0_sel:DWORD src1_sel:WORD_1
	v_fma_f16 v20, v20, v74, v52
	v_pack_b32_f16 v20, v51, v20
	ds_write2_b32 v41, v13, v20 offset0:108 offset1:117
	s_waitcnt lgkmcnt(1)
	v_lshrrev_b32_e32 v13, 16, v53
	s_waitcnt vmcnt(2)
	v_mul_f16_sdwa v20, v13, v75 dst_sel:DWORD dst_unused:UNUSED_PAD src0_sel:DWORD src1_sel:WORD_1
	v_mul_f16_sdwa v51, v53, v75 dst_sel:DWORD dst_unused:UNUSED_PAD src0_sel:DWORD src1_sel:WORD_1
	v_fma_f16 v20, v53, v75, -v20
	v_fma_f16 v13, v13, v75, v51
	ds_read_b32 v52, v41 offset:576
	v_pack_b32_f16 v13, v20, v13
	v_lshrrev_b32_e32 v20, 16, v54
	s_waitcnt vmcnt(1)
	v_mul_f16_sdwa v51, v20, v76 dst_sel:DWORD dst_unused:UNUSED_PAD src0_sel:DWORD src1_sel:WORD_1
	v_mul_f16_sdwa v53, v54, v76 dst_sel:DWORD dst_unused:UNUSED_PAD src0_sel:DWORD src1_sel:WORD_1
	v_fma_f16 v51, v54, v76, -v51
	v_fma_f16 v20, v20, v76, v53
	v_pack_b32_f16 v20, v51, v20
	ds_write2_b32 v41, v13, v20 offset0:126 offset1:135
	s_waitcnt lgkmcnt(1)
	v_lshrrev_b32_e32 v13, 16, v52
	s_waitcnt vmcnt(0)
	v_mul_f16_sdwa v20, v13, v77 dst_sel:DWORD dst_unused:UNUSED_PAD src0_sel:DWORD src1_sel:WORD_1
	v_mul_f16_sdwa v51, v52, v77 dst_sel:DWORD dst_unused:UNUSED_PAD src0_sel:DWORD src1_sel:WORD_1
	v_fma_f16 v20, v52, v77, -v20
	v_fma_f16 v13, v13, v77, v51
	v_pack_b32_f16 v13, v20, v13
	ds_write_b32 v41, v13 offset:576
.LBB0_9:
	s_or_b64 exec, exec, s[0:1]
	s_waitcnt lgkmcnt(0)
	s_barrier
	s_and_saveexec_b64 s[0:1], vcc
	s_cbranch_execz .LBB0_11
; %bb.10:
	ds_read2_b32 v[15:16], v41 offset1:9
	ds_read2_b32 v[17:18], v41 offset0:18 offset1:27
	ds_read2_b32 v[23:24], v41 offset0:36 offset1:45
	;; [unrolled: 1-line block ×7, first 2 shown]
	ds_read_b32 v30, v41 offset:576
	s_mov_b32 s2, 0x5040100
	s_waitcnt lgkmcnt(8)
	v_lshrrev_b32_e32 v42, 16, v15
	v_lshrrev_b32_e32 v43, 16, v16
	s_waitcnt lgkmcnt(7)
	v_lshrrev_b32_e32 v45, 16, v17
	v_lshrrev_b32_e32 v47, 16, v18
	;; [unrolled: 3-line block ×8, first 2 shown]
	s_waitcnt lgkmcnt(0)
	v_lshrrev_b32_e32 v38, 16, v30
	v_perm_b32 v39, v13, v20, s2
.LBB0_11:
	s_or_b64 exec, exec, s[0:1]
	s_barrier
	s_and_saveexec_b64 s[0:1], vcc
	s_cbranch_execz .LBB0_13
; %bb.12:
	v_add_f16_e32 v71, v38, v43
	v_mul_f16_e32 v72, 0xbbdd, v71
	v_sub_f16_e32 v13, v16, v30
	s_movk_i32 s25, 0x31e1
	v_fma_f16 v20, v13, s25, v72
	v_add_f16_e32 v73, v31, v45
	v_add_f16_e32 v51, v42, v20
	v_mul_f16_e32 v74, 0x3b76, v73
	v_sub_f16_e32 v20, v17, v12
	s_mov_b32 s15, 0xb5c8
	v_fma_f16 v52, v20, s15, v74
	v_add_f16_e32 v75, v32, v47
	v_add_f16_e32 v51, v52, v51
	v_mul_f16_e32 v76, 0xbacd, v75
	v_sub_f16_e32 v52, v18, v11
	s_movk_i32 s21, 0x3836
	v_fma_f16 v53, v52, s21, v76
	v_add_f16_e32 v77, v34, v49
	v_add_f16_e32 v51, v53, v51
	v_mul_f16_e32 v78, 0x39e9, v77
	v_sub_f16_e32 v53, v23, v10
	s_mov_b32 s18, 0xb964
	v_fma_f16 v54, v53, s18, v78
	v_add_f16_e32 v79, v36, v50
	;; [unrolled: 12-line block ×3, first 2 shown]
	v_add_f16_e32 v51, v56, v51
	v_mul_f16_e32 v84, 0xb461, v83
	v_sub_f16_sdwa v56, v22, v39 dst_sel:DWORD dst_unused:UNUSED_PAD src0_sel:DWORD src1_sel:WORD_1
	s_movk_i32 s26, 0x3bb2
	v_fma_f16 v57, v56, s26, v84
	v_add_f16_e32 v85, v37, v44
	v_add_f16_e32 v51, v57, v51
	v_mul_f16_e32 v86, 0x2de8, v85
	v_sub_f16_e32 v57, v19, v39
	s_mov_b32 s23, 0xbbf7
	v_fma_f16 v58, v57, s23, v86
	v_sub_f16_e32 v87, v43, v38
	s_mov_b32 s2, 0xbbdd
	v_add_f16_e32 v51, v58, v51
	v_add_f16_e32 v58, v30, v16
	v_mul_f16_e32 v88, 0xb1e1, v87
	v_fma_f16 v59, v58, s2, v88
	v_sub_f16_e32 v89, v45, v31
	s_movk_i32 s4, 0x3b76
	v_add_f16_e32 v60, v15, v59
	v_add_f16_e32 v59, v12, v17
	v_mul_f16_e32 v90, 0x35c8, v89
	v_fma_f16 v61, v59, s4, v90
	v_sub_f16_e32 v91, v47, v32
	s_mov_b32 s3, 0xbacd
	v_add_f16_e32 v61, v61, v60
	v_add_f16_e32 v60, v11, v18
	v_mul_f16_e32 v92, 0xb836, v91
	v_fma_f16 v62, v60, s3, v92
	v_sub_f16_e32 v93, v49, v34
	s_movk_i32 s14, 0x39e9
	v_add_f16_e32 v62, v62, v61
	v_add_f16_e32 v61, v10, v23
	v_mul_f16_e32 v94, 0x3964, v93
	;; [unrolled: 12-line block ×3, first 2 shown]
	v_fma_f16 v65, v64, s16, v98
	v_sub_f16_e32 v99, v46, v33
	s_mov_b32 s17, 0xb461
	v_add_f16_e32 v63, v65, v63
	v_add_f16_sdwa v65, v39, v22 dst_sel:DWORD dst_unused:UNUSED_PAD src0_sel:WORD_1 src1_sel:DWORD
	v_mul_f16_e32 v100, 0xbbb2, v99
	v_fma_f16 v66, v65, s17, v100
	v_sub_f16_e32 v101, v44, v37
	s_movk_i32 s19, 0x2de8
	v_add_f16_e32 v63, v66, v63
	v_add_f16_e32 v66, v39, v19
	v_mul_f16_e32 v102, 0x3bf7, v101
	v_fma_f16 v67, v66, s19, v102
	v_mul_f16_e32 v103, 0xbacd, v71
	v_add_f16_e32 v63, v67, v63
	v_fma_f16 v67, v13, s21, v103
	v_mul_f16_e32 v104, 0x3722, v73
	s_movk_i32 s34, 0x3bf7
	v_add_f16_e32 v67, v42, v67
	v_fma_f16 v68, v20, s20, v104
	v_mul_f16_e32 v105, 0x2de8, v75
	s_mov_b32 s27, 0xba62
	v_add_f16_e32 v67, v68, v67
	v_fma_f16 v68, v52, s34, v105
	v_mul_f16_e32 v106, 0xb8d2, v77
	s_movk_i32 s28, 0x35c8
	v_add_f16_e32 v67, v68, v67
	v_fma_f16 v68, v53, s27, v106
	v_mul_f16_e32 v107, 0x3b76, v79
	v_add_f16_e32 v67, v68, v67
	v_fma_f16 v68, v54, s28, v107
	v_mul_f16_e32 v108, 0xbbdd, v81
	;; [unrolled: 3-line block ×13, first 2 shown]
	s_mov_b32 s29, 0xbbb2
	v_add_f16_e32 v68, v69, v68
	v_fma_f16 v69, v13, s31, v119
	v_mul_f16_e32 v120, 0xb461, v73
	v_add_f16_e32 v69, v42, v69
	v_fma_f16 v70, v20, s29, v120
	v_mul_f16_e32 v121, 0x3b76, v75
	;; [unrolled: 3-line block ×4, first 2 shown]
	s_movk_i32 s33, 0x3964
	v_add_f16_e32 v69, v70, v69
	v_fma_f16 v70, v54, s23, v123
	v_mul_f16_e32 v124, 0x39e9, v81
	v_add_f16_e32 v69, v70, v69
	v_fma_f16 v70, v55, s33, v124
	v_mul_f16_e32 v125, 0xbbdd, v83
	;; [unrolled: 3-line block ×5, first 2 shown]
	v_add_f16_e32 v70, v15, v70
	v_fma_f16 v129, v59, s17, v128
	v_add_f16_e32 v70, v129, v70
	v_mul_f16_e32 v129, 0xb5c8, v91
	v_fma_f16 v130, v60, s4, v129
	v_add_f16_e32 v70, v130, v70
	v_mul_f16_e32 v130, 0xb836, v93
	;; [unrolled: 3-line block ×7, first 2 shown]
	s_mov_b32 s24, 0xb836
	v_fma_f16 v136, v13, s26, v135
	v_mul_f16_e32 v137, 0xbacd, v73
	v_add_f16_e32 v136, v42, v136
	v_fma_f16 v138, v20, s24, v137
	v_add_f16_e32 v136, v138, v136
	v_mul_f16_e32 v138, 0x39e9, v75
	v_fma_f16 v139, v52, s18, v138
	s_movk_i32 s30, 0x3b29
	v_add_f16_e32 v136, v139, v136
	v_mul_f16_e32 v139, 0x3722, v77
	v_fma_f16 v140, v53, s30, v139
	v_add_f16_e32 v136, v140, v136
	v_mul_f16_e32 v140, 0xbbdd, v79
	v_fma_f16 v141, v54, s25, v140
	;; [unrolled: 3-line block ×4, first 2 shown]
	v_add_f16_e32 v16, v16, v15
	v_add_f16_e32 v136, v143, v136
	v_mul_f16_e32 v143, 0xb8d2, v85
	v_add_f16_e32 v16, v17, v16
	v_fma_f16 v144, v57, s31, v143
	v_add_f16_e32 v16, v18, v16
	v_add_f16_e32 v136, v144, v136
	v_mul_f16_e32 v144, 0xbbb2, v87
	v_add_f16_e32 v16, v23, v16
	v_fma_f16 v145, v58, s17, v144
	v_mul_f16_e32 v146, 0x3836, v89
	v_add_f16_e32 v16, v24, v16
	v_add_f16_e32 v145, v15, v145
	v_fma_f16 v147, v59, s3, v146
	v_add_f16_e32 v16, v21, v16
	v_add_f16_e32 v145, v147, v145
	v_mul_f16_e32 v147, 0x3964, v91
	v_add_f16_e32 v16, v22, v16
	v_fma_f16 v148, v60, s14, v147
	v_add_f16_e32 v16, v19, v16
	v_add_f16_e32 v145, v148, v145
	v_mul_f16_e32 v148, 0xbb29, v93
	v_add_f16_e32 v16, v39, v16
	v_fma_f16 v149, v61, s16, v148
	v_add_f16_sdwa v16, v39, v16 dst_sel:DWORD dst_unused:UNUSED_PAD src0_sel:WORD_1 src1_sel:DWORD
	v_add_f16_e32 v145, v149, v145
	v_mul_f16_e32 v149, 0xb1e1, v95
	v_add_f16_e32 v14, v14, v16
	v_fma_f16 v150, v62, s2, v149
	v_add_f16_e32 v9, v9, v14
	s_mov_b32 s22, 0xb1e1
	v_add_f16_e32 v145, v150, v145
	v_mul_f16_e32 v150, 0x3bf7, v97
	v_add_f16_e32 v9, v10, v9
	v_fma_f16 v151, v64, s19, v150
	v_add_f16_e32 v9, v11, v9
	v_fma_f16 v11, v13, s22, v72
	v_add_f16_e32 v145, v151, v145
	v_mul_f16_e32 v151, 0xb5c8, v99
	v_add_f16_e32 v9, v12, v9
	v_add_f16_e32 v11, v42, v11
	v_fma_f16 v12, v20, s28, v74
	v_fma_f16 v152, v65, s4, v151
	v_add_f16_e32 v11, v12, v11
	v_fma_f16 v12, v52, s24, v76
	v_add_f16_e32 v145, v152, v145
	v_mul_f16_e32 v152, 0xba62, v101
	v_add_f16_e32 v11, v12, v11
	v_fma_f16 v12, v53, s33, v78
	v_fma_f16 v153, v66, s5, v152
	v_add_f16_e32 v11, v12, v11
	v_fma_f16 v12, v54, s27, v80
	v_add_f16_e32 v145, v153, v145
	v_mul_f16_e32 v153, 0x2de8, v71
	v_add_f16_e32 v11, v12, v11
	v_fma_f16 v12, v55, s30, v82
	v_fma_f16 v154, v13, s34, v153
	v_mul_f16_e32 v155, 0xbbdd, v73
	v_add_f16_e32 v11, v12, v11
	v_fma_f16 v12, v56, s29, v84
	v_add_f16_e32 v154, v42, v154
	v_fma_f16 v156, v20, s25, v155
	v_add_f16_e32 v11, v12, v11
	v_fma_f16 v12, v57, s34, v86
	v_add_f16_e32 v154, v156, v154
	v_mul_f16_e32 v156, 0xb461, v75
	v_add_f16_e32 v11, v12, v11
	v_fma_f16 v12, v58, s2, -v88
	v_fma_f16 v157, v52, s29, v156
	v_add_f16_e32 v12, v15, v12
	v_fma_f16 v14, v59, s4, -v90
	v_add_f16_e32 v154, v157, v154
	v_mul_f16_e32 v157, 0x3b76, v77
	v_add_f16_e32 v12, v14, v12
	v_fma_f16 v14, v60, s3, -v92
	v_fma_f16 v158, v53, s15, v157
	v_add_f16_e32 v12, v14, v12
	v_fma_f16 v14, v61, s14, -v94
	;; [unrolled: 7-line block ×4, first 2 shown]
	v_add_f16_e32 v154, v160, v154
	v_mul_f16_e32 v160, 0xb8d2, v83
	v_add_f16_e32 v12, v14, v12
	v_fma_f16 v14, v13, s24, v103
	v_fma_f16 v161, v56, s27, v160
	v_add_f16_e32 v14, v42, v14
	v_fma_f16 v16, v20, s30, v104
	v_add_f16_e32 v154, v161, v154
	v_mul_f16_e32 v161, 0x39e9, v85
	v_add_f16_e32 v14, v16, v14
	v_fma_f16 v16, v52, s23, v105
	v_fma_f16 v162, v57, s18, v161
	v_add_f16_e32 v14, v16, v14
	v_fma_f16 v16, v53, s31, v106
	v_add_f16_e32 v154, v162, v154
	v_mul_f16_e32 v162, 0xbbf7, v87
	v_add_f16_e32 v14, v16, v14
	v_fma_f16 v16, v54, s15, v107
	v_fma_f16 v163, v58, s19, v162
	v_mul_f16_e32 v164, 0xb1e1, v89
	v_add_f16_e32 v14, v16, v14
	v_fma_f16 v16, v55, s22, v108
	v_add_f16_e32 v163, v15, v163
	v_fma_f16 v165, v59, s2, v164
	;; [unrolled: 2-line block ×3, first 2 shown]
	v_add_f16_e32 v163, v165, v163
	v_mul_f16_e32 v165, 0x3bb2, v91
	v_add_f16_e32 v14, v16, v14
	v_fma_f16 v16, v57, s29, v110
	v_fma_f16 v166, v60, s17, v165
	v_add_f16_e32 v14, v16, v14
	v_fma_f16 v16, v58, s3, -v111
	v_add_f16_e32 v163, v166, v163
	v_mul_f16_e32 v166, 0x35c8, v93
	v_add_f16_e32 v16, v15, v16
	v_fma_f16 v17, v59, s16, -v112
	v_fma_f16 v167, v61, s4, v166
	v_add_f16_e32 v16, v17, v16
	v_fma_f16 v17, v60, s19, -v113
	v_add_f16_e32 v163, v167, v163
	v_mul_f16_e32 v167, 0xbb29, v95
	v_add_f16_e32 v16, v17, v16
	v_fma_f16 v17, v61, s5, -v114
	;; [unrolled: 7-line block ×4, first 2 shown]
	v_fma_f16 v170, v65, s5, v169
	v_add_f16_e32 v16, v17, v16
	v_fma_f16 v17, v13, s27, v119
	v_add_f16_e32 v163, v170, v163
	v_mul_f16_e32 v170, 0x3964, v101
	v_add_f16_e32 v17, v42, v17
	v_fma_f16 v18, v20, s26, v120
	v_fma_f16 v171, v66, s14, v170
	v_add_f16_e32 v17, v18, v17
	v_fma_f16 v18, v52, s15, v121
	v_add_f16_e32 v163, v171, v163
	v_mul_f16_e32 v171, 0x3722, v71
	v_add_f16_e32 v17, v18, v17
	v_fma_f16 v18, v53, s24, v122
	v_fma_f16 v172, v13, s30, v171
	v_mul_f16_e32 v173, 0xb8d2, v73
	v_add_f16_e32 v17, v18, v17
	v_fma_f16 v18, v54, s34, v123
	v_add_f16_e32 v172, v42, v172
	v_fma_f16 v174, v20, s31, v173
	;; [unrolled: 2-line block ×3, first 2 shown]
	v_add_f16_e32 v172, v174, v172
	v_mul_f16_e32 v174, 0xbbdd, v75
	v_add_f16_e32 v17, v18, v17
	v_fma_f16 v18, v56, s22, v125
	v_fma_f16 v175, v52, s22, v174
	v_add_f16_e32 v17, v18, v17
	v_fma_f16 v18, v57, s30, v126
	v_add_f16_e32 v172, v175, v172
	v_mul_f16_e32 v175, 0xb461, v77
	v_add_f16_e32 v17, v18, v17
	v_fma_f16 v18, v58, s5, -v127
	v_fma_f16 v176, v53, s29, v175
	v_add_f16_e32 v18, v15, v18
	v_fma_f16 v19, v59, s17, -v128
	v_add_f16_e32 v172, v176, v172
	v_mul_f16_e32 v176, 0x39e9, v79
	v_add_f16_e32 v18, v19, v18
	v_fma_f16 v19, v60, s4, -v129
	v_fma_f16 v177, v54, s18, v176
	v_add_f16_e32 v18, v19, v18
	v_fma_f16 v19, v61, s3, -v130
	;; [unrolled: 7-line block ×4, first 2 shown]
	v_add_f16_e32 v172, v179, v172
	v_mul_f16_e32 v179, 0xbacd, v85
	v_add_f16_e32 v18, v19, v18
	v_fma_f16 v19, v13, s29, v135
	v_fma_f16 v180, v57, s21, v179
	v_add_f16_e32 v19, v42, v19
	v_fma_f16 v21, v20, s21, v137
	v_add_f16_e32 v172, v180, v172
	v_mul_f16_e32 v180, 0xbb29, v87
	v_add_f16_e32 v19, v21, v19
	v_fma_f16 v21, v52, s33, v138
	v_fma_f16 v181, v58, s16, v180
	v_mul_f16_e32 v182, 0xba62, v89
	v_add_f16_e32 v19, v21, v19
	v_fma_f16 v21, v53, s20, v139
	v_add_f16_e32 v181, v15, v181
	v_fma_f16 v183, v59, s5, v182
	;; [unrolled: 2-line block ×3, first 2 shown]
	v_add_f16_e32 v181, v183, v181
	v_mul_f16_e32 v183, 0x31e1, v91
	v_add_f16_e32 v19, v21, v19
	v_fma_f16 v21, v55, s34, v141
	v_fma_f16 v184, v60, s2, v183
	v_add_f16_e32 v19, v21, v19
	v_fma_f16 v21, v56, s15, v142
	v_add_f16_e32 v181, v184, v181
	v_mul_f16_e32 v184, 0x3bb2, v93
	v_add_f16_e32 v19, v21, v19
	v_fma_f16 v21, v57, s27, v143
	v_fma_f16 v185, v61, s17, v184
	v_add_f16_e32 v19, v21, v19
	v_fma_f16 v21, v58, s17, -v144
	v_add_f16_e32 v181, v185, v181
	v_mul_f16_e32 v185, 0x3964, v95
	v_add_f16_e32 v21, v15, v21
	v_fma_f16 v22, v59, s3, -v146
	v_fma_f16 v186, v62, s14, v185
	v_add_f16_e32 v21, v22, v21
	v_fma_f16 v22, v60, s14, -v147
	v_add_f16_e32 v181, v186, v181
	v_mul_f16_e32 v186, 0xb5c8, v97
	v_add_f16_e32 v21, v22, v21
	v_fma_f16 v22, v61, s16, -v148
	;; [unrolled: 7-line block ×4, first 2 shown]
	v_fma_f16 v189, v66, s3, v188
	v_add_f16_e32 v21, v22, v21
	v_fma_f16 v22, v13, s23, v153
	v_add_f16_e32 v181, v189, v181
	v_mul_f16_e32 v189, 0x39e9, v71
	v_add_f16_e32 v22, v42, v22
	v_fma_f16 v23, v20, s22, v155
	v_fma_f16 v190, v13, s33, v189
	v_mul_f16_e32 v191, 0x2de8, v73
	v_add_f16_e32 v22, v23, v22
	v_fma_f16 v23, v52, s26, v156
	v_add_f16_e32 v190, v42, v190
	v_fma_f16 v192, v20, s34, v191
	;; [unrolled: 2-line block ×3, first 2 shown]
	v_add_f16_e32 v190, v192, v190
	v_mul_f16_e32 v192, 0xb8d2, v75
	v_add_f16_e32 v22, v23, v22
	v_fma_f16 v23, v54, s20, v158
	v_fma_f16 v193, v52, s31, v192
	v_add_f16_e32 v22, v23, v22
	v_fma_f16 v23, v55, s24, v159
	v_add_f16_e32 v190, v193, v190
	v_mul_f16_e32 v193, 0xbbdd, v77
	v_add_f16_e32 v22, v23, v22
	v_fma_f16 v23, v56, s31, v160
	v_fma_f16 v194, v53, s25, v193
	v_add_f16_e32 v22, v23, v22
	v_fma_f16 v23, v57, s33, v161
	v_add_f16_e32 v190, v194, v190
	v_mul_f16_e32 v194, 0xbacd, v79
	v_add_f16_e32 v22, v23, v22
	v_fma_f16 v23, v58, s19, -v162
	v_fma_f16 v195, v54, s24, v194
	v_add_f16_e32 v23, v15, v23
	v_fma_f16 v24, v59, s2, -v164
	v_add_f16_e32 v190, v195, v190
	v_mul_f16_e32 v195, 0xb461, v81
	v_add_f16_e32 v23, v24, v23
	v_fma_f16 v24, v60, s17, -v165
	v_fma_f16 v196, v55, s29, v195
	v_add_f16_e32 v10, v43, v42
	v_add_f16_e32 v23, v24, v23
	v_fma_f16 v24, v61, s4, -v166
	v_add_f16_e32 v190, v196, v190
	v_mul_f16_e32 v196, 0x3722, v83
	v_add_f16_e32 v10, v45, v10
	v_add_f16_e32 v23, v24, v23
	v_fma_f16 v24, v62, s16, -v167
	v_fma_f16 v197, v56, s20, v196
	v_add_f16_e32 v10, v47, v10
	v_add_f16_e32 v23, v24, v23
	v_fma_f16 v24, v64, s3, -v168
	v_add_f16_e32 v190, v197, v190
	v_mul_f16_e32 v197, 0x3b76, v85
	v_add_f16_e32 v10, v49, v10
	;; [unrolled: 9-line block ×3, first 2 shown]
	v_add_f16_e32 v23, v24, v23
	v_fma_f16 v24, v13, s20, v171
	v_fma_f16 v199, v58, s14, v198
	v_mul_f16_e32 v200, 0xbbf7, v89
	v_add_f16_e32 v9, v30, v9
	v_add_f16_e32 v10, v46, v10
	;; [unrolled: 1-line block ×3, first 2 shown]
	v_fma_f16 v30, v20, s27, v173
	v_add_f16_e32 v199, v15, v199
	v_fma_f16 v201, v59, s19, v200
	v_add_f16_e32 v10, v44, v10
	v_add_f16_e32 v24, v30, v24
	v_fma_f16 v30, v52, s25, v174
	v_add_f16_e32 v199, v201, v199
	v_mul_f16_e32 v201, 0xba62, v91
	v_add_f16_e32 v10, v37, v10
	v_add_f16_e32 v24, v30, v24
	v_fma_f16 v30, v53, s26, v175
	v_fma_f16 v202, v60, s5, v201
	v_add_f16_e32 v10, v33, v10
	v_add_f16_e32 v24, v30, v24
	v_fma_f16 v30, v54, s33, v176
	v_add_f16_e32 v199, v202, v199
	v_mul_f16_e32 v202, 0xb1e1, v93
	v_add_f16_e32 v10, v35, v10
	v_add_f16_e32 v24, v30, v24
	v_fma_f16 v30, v55, s15, v177
	;; [unrolled: 9-line block ×3, first 2 shown]
	v_fma_f16 v204, v62, s3, v203
	v_add_f16_e32 v10, v32, v10
	v_add_f16_e32 v24, v30, v24
	v_fma_f16 v30, v58, s16, -v180
	v_add_f16_e32 v199, v204, v199
	v_mul_f16_e32 v204, 0x3bb2, v97
	v_add_f16_e32 v10, v31, v10
	v_add_f16_e32 v30, v15, v30
	v_fma_f16 v31, v59, s5, -v182
	v_fma_f16 v205, v64, s17, v204
	v_add_f16_e32 v30, v31, v30
	v_fma_f16 v31, v60, s2, -v183
	v_add_f16_e32 v199, v205, v199
	v_mul_f16_e32 v205, 0x3b29, v99
	v_add_f16_e32 v30, v31, v30
	v_fma_f16 v31, v61, s17, -v184
	v_fma_f16 v206, v65, s16, v205
	v_add_f16_e32 v30, v31, v30
	v_fma_f16 v31, v62, s14, -v185
	v_add_f16_e32 v199, v206, v199
	v_mul_f16_e32 v206, 0x35c8, v101
	v_add_f16_e32 v30, v31, v30
	v_fma_f16 v31, v64, s4, -v186
	v_fma_f16 v207, v66, s4, v206
	v_mul_f16_e32 v71, 0x3b76, v71
	v_add_f16_e32 v30, v31, v30
	v_fma_f16 v31, v65, s19, -v187
	v_add_f16_e32 v199, v207, v199
	v_fma_f16 v207, v13, s28, v71
	v_mul_f16_e32 v73, 0x39e9, v73
	v_add_f16_e32 v30, v31, v30
	v_fma_f16 v31, v66, s3, -v188
	v_add_f16_e32 v207, v42, v207
	v_fma_f16 v208, v20, s33, v73
	v_mul_f16_e32 v75, 0x3722, v75
	v_add_f16_e32 v30, v31, v30
	v_fma_f16 v31, v13, s18, v189
	v_fma_f16 v13, v13, s15, v71
	v_add_f16_e32 v207, v208, v207
	v_fma_f16 v208, v52, s30, v75
	v_mul_f16_e32 v77, 0x2de8, v77
	v_add_f16_e32 v31, v42, v31
	v_fma_f16 v32, v20, s23, v191
	v_add_f16_e32 v13, v42, v13
	v_fma_f16 v20, v20, s18, v73
	v_add_f16_e32 v207, v208, v207
	v_fma_f16 v208, v53, s34, v77
	v_mul_f16_e32 v79, 0xb461, v79
	v_add_f16_e32 v31, v32, v31
	v_fma_f16 v32, v52, s27, v192
	v_add_f16_e32 v13, v20, v13
	;; [unrolled: 7-line block ×7, first 2 shown]
	v_fma_f16 v20, v57, s22, v85
	v_add_f16_e32 v208, v15, v208
	v_fma_f16 v209, v59, s14, v89
	v_mul_f16_e32 v91, 0xbb29, v91
	v_add_f16_e32 v31, v32, v31
	v_fma_f16 v32, v58, s14, -v198
	v_add_f16_e32 v13, v20, v13
	v_fma_f16 v20, v58, s4, -v87
	v_add_f16_e32 v208, v209, v208
	v_fma_f16 v209, v60, s16, v91
	v_mul_f16_e32 v93, 0xbbf7, v93
	v_add_f16_e32 v32, v15, v32
	v_add_f16_e32 v15, v15, v20
	v_fma_f16 v20, v59, s14, -v89
	v_add_f16_e32 v208, v209, v208
	v_fma_f16 v209, v61, s19, v93
	v_mul_f16_e32 v95, 0xbbb2, v95
	v_add_f16_e32 v15, v20, v15
	v_fma_f16 v20, v60, s16, -v91
	v_add_f16_e32 v208, v209, v208
	v_fma_f16 v209, v62, s17, v95
	v_mul_f16_e32 v97, 0xba62, v97
	;; [unrolled: 5-line block ×4, first 2 shown]
	v_add_f16_e32 v15, v20, v15
	v_fma_f16 v20, v64, s5, -v97
	v_add_f16_e32 v208, v209, v208
	v_fma_f16 v209, v66, s2, v101
	v_add_f16_e32 v15, v20, v15
	v_fma_f16 v20, v65, s3, -v99
	v_add_f16_e32 v208, v209, v208
	v_add_f16_e32 v10, v38, v10
	v_fma_f16 v33, v59, s19, -v200
	v_add_f16_e32 v15, v20, v15
	v_fma_f16 v20, v66, s2, -v101
	;; [unrolled: 2-line block ×3, first 2 shown]
	v_add_f16_e32 v15, v20, v15
	v_lshl_add_u32 v20, v29, 2, v28
	v_pack_b32_f16 v28, v208, v207
	v_pack_b32_f16 v9, v9, v10
	v_add_f16_e32 v32, v33, v32
	v_fma_f16 v33, v61, s2, -v202
	ds_write2_b32 v20, v9, v28 offset1:1
	v_pack_b32_f16 v9, v181, v172
	v_pack_b32_f16 v10, v199, v190
	v_add_f16_e32 v32, v33, v32
	v_fma_f16 v33, v62, s3, -v203
	ds_write2_b32 v20, v10, v9 offset0:2 offset1:3
	v_pack_b32_f16 v9, v145, v136
	v_pack_b32_f16 v10, v163, v154
	v_add_f16_e32 v32, v33, v32
	v_fma_f16 v33, v64, s17, -v204
	ds_write2_b32 v20, v10, v9 offset0:4 offset1:5
	;; [unrolled: 5-line block ×4, first 2 shown]
	v_pack_b32_f16 v9, v18, v17
	v_pack_b32_f16 v10, v16, v14
	v_add_f16_e32 v32, v33, v32
	ds_write2_b32 v20, v10, v9 offset0:10 offset1:11
	v_pack_b32_f16 v9, v23, v22
	v_pack_b32_f16 v10, v21, v19
	ds_write2_b32 v20, v10, v9 offset0:12 offset1:13
	v_pack_b32_f16 v9, v32, v31
	v_pack_b32_f16 v10, v30, v24
	ds_write2_b32 v20, v10, v9 offset0:14 offset1:15
	v_pack_b32_f16 v9, v15, v13
	ds_write_b32 v20, v9 offset:64
.LBB0_13:
	s_or_b64 exec, exec, s[0:1]
	s_waitcnt lgkmcnt(0)
	s_barrier
	ds_read2_b32 v[9:10], v40 offset1:17
	ds_read2_b32 v[11:12], v40 offset0:34 offset1:51
	ds_read2_b32 v[13:14], v40 offset0:68 offset1:85
	;; [unrolled: 1-line block ×3, first 2 shown]
	ds_read_b32 v21, v40 offset:544
	s_waitcnt lgkmcnt(4)
	v_lshrrev_b32_e32 v18, 16, v10
	v_mul_f16_sdwa v30, v0, v18 dst_sel:DWORD dst_unused:UNUSED_PAD src0_sel:WORD_1 src1_sel:DWORD
	s_waitcnt lgkmcnt(3)
	v_lshrrev_b32_e32 v19, 16, v11
	v_fma_f16 v30, v0, v10, v30
	v_mul_f16_sdwa v10, v0, v10 dst_sel:DWORD dst_unused:UNUSED_PAD src0_sel:WORD_1 src1_sel:DWORD
	v_fma_f16 v0, v0, v18, -v10
	v_mul_f16_sdwa v10, v1, v19 dst_sel:DWORD dst_unused:UNUSED_PAD src0_sel:WORD_1 src1_sel:DWORD
	v_lshrrev_b32_e32 v20, 16, v12
	v_fma_f16 v10, v1, v11, v10
	v_mul_f16_sdwa v11, v1, v11 dst_sel:DWORD dst_unused:UNUSED_PAD src0_sel:WORD_1 src1_sel:DWORD
	v_fma_f16 v1, v1, v19, -v11
	v_mul_f16_sdwa v11, v2, v20 dst_sel:DWORD dst_unused:UNUSED_PAD src0_sel:WORD_1 src1_sel:DWORD
	s_waitcnt lgkmcnt(2)
	v_lshrrev_b32_e32 v22, 16, v13
	v_fma_f16 v11, v2, v12, v11
	v_mul_f16_sdwa v12, v2, v12 dst_sel:DWORD dst_unused:UNUSED_PAD src0_sel:WORD_1 src1_sel:DWORD
	v_fma_f16 v2, v2, v20, -v12
	v_mul_f16_sdwa v12, v3, v22 dst_sel:DWORD dst_unused:UNUSED_PAD src0_sel:WORD_1 src1_sel:DWORD
	v_lshrrev_b32_e32 v23, 16, v14
	v_fma_f16 v12, v3, v13, v12
	v_mul_f16_sdwa v13, v3, v13 dst_sel:DWORD dst_unused:UNUSED_PAD src0_sel:WORD_1 src1_sel:DWORD
	v_fma_f16 v3, v3, v22, -v13
	;; [unrolled: 11-line block ×3, first 2 shown]
	v_mul_f16_sdwa v15, v6, v28 dst_sel:DWORD dst_unused:UNUSED_PAD src0_sel:WORD_1 src1_sel:DWORD
	s_waitcnt lgkmcnt(0)
	v_lshrrev_b32_e32 v29, 16, v21
	v_fma_f16 v15, v6, v16, v15
	v_mul_f16_sdwa v16, v6, v16 dst_sel:DWORD dst_unused:UNUSED_PAD src0_sel:WORD_1 src1_sel:DWORD
	v_fma_f16 v6, v6, v28, -v16
	v_mul_f16_sdwa v16, v7, v29 dst_sel:DWORD dst_unused:UNUSED_PAD src0_sel:WORD_1 src1_sel:DWORD
	v_fma_f16 v16, v7, v21, v16
	v_mul_f16_sdwa v18, v7, v21 dst_sel:DWORD dst_unused:UNUSED_PAD src0_sel:WORD_1 src1_sel:DWORD
	v_fma_f16 v7, v7, v29, -v18
	v_add_f16_e32 v18, v30, v16
	v_sub_f16_e32 v16, v30, v16
	v_add_f16_e32 v19, v0, v7
	v_add_f16_e32 v21, v1, v6
	;; [unrolled: 1-line block ×4, first 2 shown]
	v_sub_f16_e32 v0, v0, v7
	v_sub_f16_e32 v7, v10, v15
	;; [unrolled: 1-line block ×5, first 2 shown]
	v_mul_f16_e32 v5, 0x3924, v16
	s_movk_i32 s0, 0x3be1
	v_sub_f16_e32 v11, v12, v13
	v_sub_f16_e32 v14, v3, v4
	v_add_f16_e32 v20, v10, v15
	v_mul_f16_e32 v10, 0x3924, v0
	v_fma_f16 v5, v7, s0, v5
	s_movk_i32 s1, 0x3aee
	v_mul_f16_e32 v30, 0xb924, v11
	v_mul_f16_e32 v31, 0xb924, v14
	v_fma_f16 v10, v1, s0, v10
	v_fma_f16 v5, v6, s1, v5
	s_movk_i32 s2, 0x3579
	v_fma_f16 v30, v16, s0, v30
	v_fma_f16 v31, v0, s0, v31
	s_mov_b32 s0, 0xbaee
	v_fma_f16 v10, v2, s1, v10
	v_fma_f16 v5, v11, s2, v5
	s_mov_b32 s14, 0xb924
	v_fma_f16 v30, v6, s0, v30
	v_add_f16_e32 v34, v11, v16
	v_mul_f16_e32 v11, 0x3be1, v11
	v_fma_f16 v10, v14, s2, v10
	v_fma_f16 v31, v2, s0, v31
	;; [unrolled: 1-line block ×3, first 2 shown]
	v_add_f16_e32 v35, v14, v0
	v_sub_f16_e32 v34, v34, v7
	v_mul_f16_e32 v14, 0x3be1, v14
	v_fma_f16 v7, v7, s14, -v11
	v_fma_f16 v31, v1, s2, v31
	v_sub_f16_e32 v35, v35, v1
	v_add_f16_e32 v42, v21, v19
	v_fma_f16 v1, v1, s14, -v14
	v_fma_f16 v6, v6, s1, v7
	v_lshrrev_b32_e32 v17, 16, v9
	s_movk_i32 s3, 0x3a21
	v_fma_f16 v1, v2, s1, v1
	v_fma_f16 v2, v16, s2, v6
	v_add_f16_e32 v6, v23, v42
	v_fma_f16 v15, v18, s3, v9
	v_fma_f16 v24, v19, s3, v17
	s_movk_i32 s4, 0x318f
	v_add_f16_e32 v28, v12, v13
	v_add_f16_e32 v29, v3, v4
	;; [unrolled: 1-line block ×4, first 2 shown]
	v_fma_f16 v15, v20, s4, v15
	v_fma_f16 v24, v21, s4, v24
	;; [unrolled: 1-line block ×5, first 2 shown]
	v_add_f16_e32 v1, v22, v40
	v_add_f16_e32 v3, v4, v3
	v_fma_f16 v4, v20, s3, v9
	v_fma_f16 v6, v21, s3, v17
	v_fma_f16 v15, v22, -0.5, v15
	v_fma_f16 v24, v23, -0.5, v24
	s_mov_b32 s5, 0xbb84
	v_fma_f16 v32, v18, s4, v32
	v_fma_f16 v33, v19, s4, v33
	v_add_f16_e32 v1, v12, v1
	v_fma_f16 v4, v28, s4, v4
	v_fma_f16 v6, v29, s4, v6
	;; [unrolled: 1-line block ×4, first 2 shown]
	v_fma_f16 v32, v22, -0.5, v32
	v_fma_f16 v33, v23, -0.5, v33
	v_add_f16_e32 v38, v22, v9
	v_add_f16_e32 v39, v23, v17
	;; [unrolled: 1-line block ×5, first 2 shown]
	v_fma_f16 v4, v22, -0.5, v4
	v_fma_f16 v6, v23, -0.5, v6
	v_sub_f16_e32 v15, v15, v10
	v_add_f16_e32 v24, v5, v24
	v_fma_f16 v32, v20, s5, v32
	v_fma_f16 v33, v21, s5, v33
	v_fma_f16 v38, v43, -0.5, v38
	v_fma_f16 v39, v44, -0.5, v39
	v_add_f16_e32 v1, v1, v9
	v_add_f16_e32 v3, v3, v17
	v_fma_f16 v4, v18, s5, v4
	v_fma_f16 v6, v19, s5, v6
	v_sub_f16_e32 v32, v32, v31
	v_add_f16_e32 v33, v30, v33
	v_mul_f16_e32 v36, 0x3aee, v34
	v_mul_f16_e32 v37, 0x3aee, v35
	v_fma_f16 v35, v35, s0, v38
	v_fma_f16 v34, v34, s1, v39
	v_sub_f16_e32 v4, v4, v0
	v_add_f16_e32 v6, v2, v6
	v_pack_b32_f16 v1, v1, v3
	v_pack_b32_f16 v3, v15, v24
	v_fma_f16 v0, v0, 2.0, v4
	v_fma_f16 v2, v2, -2.0, v6
	ds_write2_b32 v41, v1, v3 offset1:17
	v_pack_b32_f16 v1, v32, v33
	v_pack_b32_f16 v3, v35, v34
	v_fma_f16 v31, v31, 2.0, v32
	v_fma_f16 v30, v30, -2.0, v33
	v_fma_f16 v37, v37, 2.0, v35
	v_fma_f16 v36, v36, -2.0, v34
	ds_write2_b32 v41, v1, v3 offset0:34 offset1:51
	v_pack_b32_f16 v1, v4, v6
	v_pack_b32_f16 v0, v0, v2
	v_fma_f16 v10, v10, 2.0, v15
	v_fma_f16 v5, v5, -2.0, v24
	ds_write2_b32 v41, v1, v0 offset0:68 offset1:85
	v_pack_b32_f16 v0, v37, v36
	v_pack_b32_f16 v1, v31, v30
	ds_write2_b32 v41, v0, v1 offset0:102 offset1:119
	v_pack_b32_f16 v0, v10, v5
	ds_write_b32 v41, v0 offset:544
	s_waitcnt lgkmcnt(0)
	s_barrier
	s_and_b64 exec, exec, vcc
	s_cbranch_execz .LBB0_15
; %bb.14:
	global_load_dword v9, v26, s[6:7]
	v_mad_u64_u32 v[1:2], s[0:1], s10, v8, 0
	v_mad_u64_u32 v[3:4], s[0:1], s8, v25, 0
	ds_read_b32 v10, v41
	s_mov_b32 s14, 0x1ac5701b
	v_mad_u64_u32 v[5:6], s[0:1], s11, v8, v[2:3]
	s_mov_b32 s15, 0x3f7ac570
	v_mov_b32_e32 v11, s13
	v_mad_u64_u32 v[6:7], s[0:1], s9, v25, v[4:5]
	s_waitcnt lgkmcnt(0)
	v_lshrrev_b32_e32 v7, 16, v10
	v_mov_b32_e32 v2, v5
	v_mov_b32_e32 v4, v6
	v_lshlrev_b64 v[1:2], 2, v[1:2]
	v_lshlrev_b64 v[3:4], 2, v[3:4]
	v_add_co_u32_e32 v1, vcc, s12, v1
	v_addc_co_u32_e32 v2, vcc, v11, v2, vcc
	s_movk_i32 s16, 0x1ff
	s_movk_i32 s10, 0xffe
	v_mov_b32_e32 v0, 0x7c00
	s_movk_i32 s18, 0x40f
	s_mov_b32 s17, 0x8000
	s_mul_hi_u32 s12, s8, 36
	s_mul_i32 s11, s8, 36
	s_waitcnt vmcnt(0)
	v_mul_f16_sdwa v5, v7, v9 dst_sel:DWORD dst_unused:UNUSED_PAD src0_sel:DWORD src1_sel:WORD_1
	v_fma_f16 v5, v10, v9, v5
	v_mul_f16_sdwa v6, v10, v9 dst_sel:DWORD dst_unused:UNUSED_PAD src0_sel:DWORD src1_sel:WORD_1
	v_cvt_f32_f16_e32 v5, v5
	v_fma_f16 v6, v9, v7, -v6
	v_cvt_f32_f16_e32 v7, v6
	v_add_co_u32_e32 v9, vcc, v1, v3
	v_cvt_f64_f32_e32 v[5:6], v5
	v_cvt_f64_f32_e32 v[7:8], v7
	v_addc_co_u32_e32 v10, vcc, v2, v4, vcc
	v_mul_f64 v[5:6], v[5:6], s[14:15]
	v_mul_f64 v[7:8], v[7:8], s[14:15]
	v_and_or_b32 v3, v6, s16, v5
	v_and_or_b32 v7, v8, s16, v7
	v_cmp_ne_u32_e32 vcc, 0, v3
	v_lshrrev_b32_e32 v4, 8, v6
	v_bfe_u32 v5, v6, 20, 11
	v_cndmask_b32_e64 v3, 0, 1, vcc
	v_cmp_ne_u32_e32 vcc, 0, v7
	v_lshrrev_b32_e32 v11, 8, v8
	v_bfe_u32 v12, v8, 20, 11
	v_sub_u32_e32 v13, 0x3f1, v5
	v_cndmask_b32_e64 v7, 0, 1, vcc
	v_and_or_b32 v3, v4, s10, v3
	v_sub_u32_e32 v14, 0x3f1, v12
	v_med3_i32 v4, v13, 0, 13
	v_and_or_b32 v7, v11, s10, v7
	v_or_b32_e32 v13, 0x1000, v3
	v_add_u32_e32 v5, 0xfffffc10, v5
	v_med3_i32 v11, v14, 0, 13
	v_cmp_ne_u32_e32 vcc, 0, v3
	v_or_b32_e32 v15, 0x1000, v7
	v_lshrrev_b32_e32 v17, v4, v13
	v_add_u32_e32 v12, 0xfffffc10, v12
	v_lshl_or_b32 v14, v5, 12, v3
	v_cndmask_b32_e64 v3, 0, 1, vcc
	v_cmp_ne_u32_e32 vcc, 0, v7
	v_lshrrev_b32_e32 v18, v11, v15
	v_lshlrev_b32_e32 v4, v4, v17
	v_lshl_or_b32 v16, v12, 12, v7
	v_cndmask_b32_e64 v7, 0, 1, vcc
	v_lshlrev_b32_e32 v11, v11, v18
	v_cmp_ne_u32_e32 vcc, v4, v13
	v_cndmask_b32_e64 v4, 0, 1, vcc
	v_cmp_ne_u32_e32 vcc, v11, v15
	v_cndmask_b32_e64 v11, 0, 1, vcc
	v_or_b32_e32 v4, v17, v4
	v_cmp_gt_i32_e32 vcc, 1, v5
	v_cndmask_b32_e32 v4, v14, v4, vcc
	v_or_b32_e32 v11, v18, v11
	v_cmp_gt_i32_e32 vcc, 1, v12
	v_and_b32_e32 v13, 7, v4
	v_cndmask_b32_e32 v11, v16, v11, vcc
	v_cmp_lt_i32_e32 vcc, 5, v13
	v_cmp_eq_u32_e64 s[0:1], 3, v13
	v_lshrrev_b32_e32 v4, 2, v4
	v_and_b32_e32 v14, 7, v11
	s_or_b64 vcc, s[0:1], vcc
	v_cmp_lt_i32_e64 s[2:3], 5, v14
	v_cmp_eq_u32_e64 s[4:5], 3, v14
	v_addc_co_u32_e32 v4, vcc, 0, v4, vcc
	v_lshrrev_b32_e32 v11, 2, v11
	s_or_b64 vcc, s[4:5], s[2:3]
	v_addc_co_u32_e32 v11, vcc, 0, v11, vcc
	v_cmp_gt_i32_e32 vcc, 31, v5
	v_cndmask_b32_e32 v4, v0, v4, vcc
	v_cmp_gt_i32_e32 vcc, 31, v12
	v_lshl_or_b32 v3, v3, 9, v0
	v_cndmask_b32_e32 v11, v0, v11, vcc
	v_cmp_eq_u32_e32 vcc, s18, v5
	v_lshrrev_b32_e32 v6, 16, v6
	v_lshl_or_b32 v7, v7, 9, v0
	v_cndmask_b32_e32 v3, v4, v3, vcc
	v_cmp_eq_u32_e32 vcc, s18, v12
	v_lshrrev_b32_e32 v8, 16, v8
	v_cndmask_b32_e32 v4, v11, v7, vcc
	v_and_or_b32 v3, v6, s17, v3
	v_and_or_b32 v4, v8, s17, v4
	v_and_b32_e32 v3, 0xffff, v3
	v_lshl_or_b32 v3, v4, 16, v3
	global_store_dword v[9:10], v3, off
	global_load_dword v6, v26, s[6:7] offset:36
	v_lshl_add_u32 v3, v27, 2, v26
	ds_read2_b32 v[4:5], v3 offset0:9 offset1:18
	s_mul_i32 s0, s9, 36
	s_add_i32 s12, s12, s0
	s_waitcnt lgkmcnt(0)
	v_lshrrev_b32_e32 v7, 16, v4
	s_waitcnt vmcnt(0)
	v_mul_f16_sdwa v8, v7, v6 dst_sel:DWORD dst_unused:UNUSED_PAD src0_sel:DWORD src1_sel:WORD_1
	v_fma_f16 v8, v4, v6, v8
	v_mul_f16_sdwa v4, v4, v6 dst_sel:DWORD dst_unused:UNUSED_PAD src0_sel:DWORD src1_sel:WORD_1
	v_cvt_f32_f16_e32 v8, v8
	v_fma_f16 v4, v6, v7, -v4
	v_cvt_f32_f16_e32 v4, v4
	v_cvt_f64_f32_e32 v[6:7], v8
	v_add_co_u32_e32 v8, vcc, s11, v9
	v_cvt_f64_f32_e32 v[11:12], v4
	v_mul_f64 v[6:7], v[6:7], s[14:15]
	v_mov_b32_e32 v4, s12
	v_addc_co_u32_e32 v9, vcc, v10, v4, vcc
	v_mul_f64 v[11:12], v[11:12], s[14:15]
	v_and_or_b32 v4, v7, s16, v6
	v_cmp_ne_u32_e32 vcc, 0, v4
	v_lshrrev_b32_e32 v6, 8, v7
	v_bfe_u32 v10, v7, 20, 11
	v_and_or_b32 v11, v12, s16, v11
	v_cndmask_b32_e64 v4, 0, 1, vcc
	v_cmp_ne_u32_e32 vcc, 0, v11
	v_lshrrev_b32_e32 v13, 8, v12
	v_bfe_u32 v14, v12, 20, 11
	v_sub_u32_e32 v15, 0x3f1, v10
	v_cndmask_b32_e64 v11, 0, 1, vcc
	v_and_or_b32 v4, v6, s10, v4
	v_sub_u32_e32 v16, 0x3f1, v14
	v_med3_i32 v6, v15, 0, 13
	v_and_or_b32 v11, v13, s10, v11
	v_or_b32_e32 v15, 0x1000, v4
	v_add_u32_e32 v10, 0xfffffc10, v10
	v_med3_i32 v13, v16, 0, 13
	v_cmp_ne_u32_e32 vcc, 0, v4
	v_or_b32_e32 v17, 0x1000, v11
	v_lshrrev_b32_e32 v19, v6, v15
	v_add_u32_e32 v14, 0xfffffc10, v14
	v_lshl_or_b32 v16, v10, 12, v4
	v_cndmask_b32_e64 v4, 0, 1, vcc
	v_cmp_ne_u32_e32 vcc, 0, v11
	v_lshrrev_b32_e32 v20, v13, v17
	v_lshlrev_b32_e32 v6, v6, v19
	v_lshl_or_b32 v18, v14, 12, v11
	v_cndmask_b32_e64 v11, 0, 1, vcc
	v_lshlrev_b32_e32 v13, v13, v20
	v_cmp_ne_u32_e32 vcc, v6, v15
	v_cndmask_b32_e64 v6, 0, 1, vcc
	v_cmp_ne_u32_e32 vcc, v13, v17
	v_cndmask_b32_e64 v13, 0, 1, vcc
	v_or_b32_e32 v6, v19, v6
	v_cmp_gt_i32_e32 vcc, 1, v10
	v_cndmask_b32_e32 v6, v16, v6, vcc
	v_or_b32_e32 v13, v20, v13
	v_cmp_gt_i32_e32 vcc, 1, v14
	v_and_b32_e32 v15, 7, v6
	v_cndmask_b32_e32 v13, v18, v13, vcc
	v_cmp_lt_i32_e32 vcc, 5, v15
	v_cmp_eq_u32_e64 s[0:1], 3, v15
	v_lshrrev_b32_e32 v6, 2, v6
	v_and_b32_e32 v16, 7, v13
	s_or_b64 vcc, s[0:1], vcc
	v_cmp_lt_i32_e64 s[2:3], 5, v16
	v_cmp_eq_u32_e64 s[4:5], 3, v16
	v_addc_co_u32_e32 v6, vcc, 0, v6, vcc
	v_lshrrev_b32_e32 v13, 2, v13
	s_or_b64 vcc, s[4:5], s[2:3]
	v_addc_co_u32_e32 v13, vcc, 0, v13, vcc
	v_cmp_gt_i32_e32 vcc, 31, v10
	v_cndmask_b32_e32 v6, v0, v6, vcc
	v_cmp_gt_i32_e32 vcc, 31, v14
	v_lshl_or_b32 v4, v4, 9, v0
	v_cndmask_b32_e32 v13, v0, v13, vcc
	v_cmp_eq_u32_e32 vcc, s18, v10
	v_lshrrev_b32_e32 v7, 16, v7
	v_lshl_or_b32 v11, v11, 9, v0
	v_cndmask_b32_e32 v4, v6, v4, vcc
	v_cmp_eq_u32_e32 vcc, s18, v14
	v_lshrrev_b32_e32 v12, 16, v12
	v_cndmask_b32_e32 v6, v13, v11, vcc
	v_and_or_b32 v4, v7, s17, v4
	v_and_or_b32 v6, v12, s17, v6
	v_and_b32_e32 v4, 0xffff, v4
	v_lshl_or_b32 v4, v6, 16, v4
	global_store_dword v[8:9], v4, off
	global_load_dword v4, v26, s[6:7] offset:72
	v_lshrrev_b32_e32 v6, 16, v5
	v_mov_b32_e32 v10, s12
	v_add_co_u32_e32 v8, vcc, s11, v8
	v_addc_co_u32_e32 v9, vcc, v9, v10, vcc
	s_waitcnt vmcnt(0)
	v_mul_f16_sdwa v7, v6, v4 dst_sel:DWORD dst_unused:UNUSED_PAD src0_sel:DWORD src1_sel:WORD_1
	v_fma_f16 v7, v5, v4, v7
	v_mul_f16_sdwa v5, v5, v4 dst_sel:DWORD dst_unused:UNUSED_PAD src0_sel:DWORD src1_sel:WORD_1
	v_cvt_f32_f16_e32 v7, v7
	v_fma_f16 v4, v4, v6, -v5
	v_cvt_f32_f16_e32 v6, v4
	v_cvt_f64_f32_e32 v[4:5], v7
	v_cvt_f64_f32_e32 v[6:7], v6
	v_mul_f64 v[4:5], v[4:5], s[14:15]
	v_mul_f64 v[6:7], v[6:7], s[14:15]
	v_and_or_b32 v4, v5, s16, v4
	v_cmp_ne_u32_e32 vcc, 0, v4
	v_and_or_b32 v6, v7, s16, v6
	v_lshrrev_b32_e32 v10, 8, v5
	v_bfe_u32 v11, v5, 20, 11
	v_cndmask_b32_e64 v4, 0, 1, vcc
	v_cmp_ne_u32_e32 vcc, 0, v6
	v_lshrrev_b32_e32 v12, 8, v7
	v_bfe_u32 v13, v7, 20, 11
	v_sub_u32_e32 v14, 0x3f1, v11
	v_cndmask_b32_e64 v6, 0, 1, vcc
	v_and_or_b32 v4, v10, s10, v4
	v_sub_u32_e32 v15, 0x3f1, v13
	v_med3_i32 v10, v14, 0, 13
	v_and_or_b32 v6, v12, s10, v6
	v_or_b32_e32 v14, 0x1000, v4
	v_add_u32_e32 v11, 0xfffffc10, v11
	v_med3_i32 v12, v15, 0, 13
	v_cmp_ne_u32_e32 vcc, 0, v4
	v_or_b32_e32 v16, 0x1000, v6
	v_lshrrev_b32_e32 v18, v10, v14
	v_add_u32_e32 v13, 0xfffffc10, v13
	v_lshl_or_b32 v15, v11, 12, v4
	v_cndmask_b32_e64 v4, 0, 1, vcc
	v_cmp_ne_u32_e32 vcc, 0, v6
	v_lshrrev_b32_e32 v19, v12, v16
	v_lshlrev_b32_e32 v10, v10, v18
	v_lshl_or_b32 v17, v13, 12, v6
	v_cndmask_b32_e64 v6, 0, 1, vcc
	v_lshlrev_b32_e32 v12, v12, v19
	v_cmp_ne_u32_e32 vcc, v10, v14
	v_cndmask_b32_e64 v10, 0, 1, vcc
	v_cmp_ne_u32_e32 vcc, v12, v16
	v_cndmask_b32_e64 v12, 0, 1, vcc
	v_or_b32_e32 v10, v18, v10
	v_cmp_gt_i32_e32 vcc, 1, v11
	v_cndmask_b32_e32 v10, v15, v10, vcc
	v_or_b32_e32 v12, v19, v12
	v_cmp_gt_i32_e32 vcc, 1, v13
	v_and_b32_e32 v14, 7, v10
	v_cndmask_b32_e32 v12, v17, v12, vcc
	v_cmp_lt_i32_e32 vcc, 5, v14
	v_cmp_eq_u32_e64 s[0:1], 3, v14
	v_lshrrev_b32_e32 v10, 2, v10
	v_and_b32_e32 v15, 7, v12
	s_or_b64 vcc, s[0:1], vcc
	v_cmp_lt_i32_e64 s[2:3], 5, v15
	v_cmp_eq_u32_e64 s[4:5], 3, v15
	v_addc_co_u32_e32 v10, vcc, 0, v10, vcc
	v_lshrrev_b32_e32 v12, 2, v12
	s_or_b64 vcc, s[4:5], s[2:3]
	v_addc_co_u32_e32 v12, vcc, 0, v12, vcc
	v_cmp_gt_i32_e32 vcc, 31, v11
	v_cndmask_b32_e32 v10, v0, v10, vcc
	v_cmp_gt_i32_e32 vcc, 31, v13
	v_lshl_or_b32 v4, v4, 9, v0
	v_cndmask_b32_e32 v12, v0, v12, vcc
	v_cmp_eq_u32_e32 vcc, s18, v11
	v_lshrrev_b32_e32 v5, 16, v5
	v_lshl_or_b32 v6, v6, 9, v0
	v_cndmask_b32_e32 v4, v10, v4, vcc
	v_cmp_eq_u32_e32 vcc, s18, v13
	v_lshrrev_b32_e32 v7, 16, v7
	v_cndmask_b32_e32 v6, v12, v6, vcc
	v_and_or_b32 v4, v5, s17, v4
	v_and_or_b32 v5, v7, s17, v6
	v_and_b32_e32 v4, 0xffff, v4
	v_lshl_or_b32 v4, v5, 16, v4
	global_store_dword v[8:9], v4, off
	global_load_dword v6, v26, s[6:7] offset:108
	ds_read2_b32 v[4:5], v3 offset0:27 offset1:36
	v_add_co_u32_e32 v8, vcc, s11, v8
	s_waitcnt lgkmcnt(0)
	v_lshrrev_b32_e32 v7, 16, v4
	s_waitcnt vmcnt(0)
	v_mul_f16_sdwa v10, v7, v6 dst_sel:DWORD dst_unused:UNUSED_PAD src0_sel:DWORD src1_sel:WORD_1
	v_fma_f16 v10, v4, v6, v10
	v_mul_f16_sdwa v4, v4, v6 dst_sel:DWORD dst_unused:UNUSED_PAD src0_sel:DWORD src1_sel:WORD_1
	v_cvt_f32_f16_e32 v10, v10
	v_fma_f16 v4, v6, v7, -v4
	v_cvt_f32_f16_e32 v4, v4
	v_cvt_f64_f32_e32 v[6:7], v10
	v_cvt_f64_f32_e32 v[10:11], v4
	v_mov_b32_e32 v4, s12
	v_mul_f64 v[6:7], v[6:7], s[14:15]
	v_addc_co_u32_e32 v9, vcc, v9, v4, vcc
	v_mul_f64 v[10:11], v[10:11], s[14:15]
	v_and_or_b32 v4, v7, s16, v6
	v_cmp_ne_u32_e32 vcc, 0, v4
	v_lshrrev_b32_e32 v6, 8, v7
	v_and_or_b32 v10, v11, s16, v10
	v_bfe_u32 v12, v7, 20, 11
	v_cndmask_b32_e64 v4, 0, 1, vcc
	v_cmp_ne_u32_e32 vcc, 0, v10
	v_lshrrev_b32_e32 v13, 8, v11
	v_bfe_u32 v14, v11, 20, 11
	v_sub_u32_e32 v15, 0x3f1, v12
	v_cndmask_b32_e64 v10, 0, 1, vcc
	v_and_or_b32 v4, v6, s10, v4
	v_sub_u32_e32 v16, 0x3f1, v14
	v_med3_i32 v6, v15, 0, 13
	v_and_or_b32 v10, v13, s10, v10
	v_or_b32_e32 v15, 0x1000, v4
	v_add_u32_e32 v12, 0xfffffc10, v12
	v_med3_i32 v13, v16, 0, 13
	v_cmp_ne_u32_e32 vcc, 0, v4
	v_or_b32_e32 v17, 0x1000, v10
	v_lshrrev_b32_e32 v19, v6, v15
	v_add_u32_e32 v14, 0xfffffc10, v14
	v_lshl_or_b32 v16, v12, 12, v4
	v_cndmask_b32_e64 v4, 0, 1, vcc
	v_cmp_ne_u32_e32 vcc, 0, v10
	v_lshrrev_b32_e32 v20, v13, v17
	v_lshlrev_b32_e32 v6, v6, v19
	v_lshl_or_b32 v18, v14, 12, v10
	v_cndmask_b32_e64 v10, 0, 1, vcc
	v_lshlrev_b32_e32 v13, v13, v20
	v_cmp_ne_u32_e32 vcc, v6, v15
	v_cndmask_b32_e64 v6, 0, 1, vcc
	v_cmp_ne_u32_e32 vcc, v13, v17
	v_cndmask_b32_e64 v13, 0, 1, vcc
	v_or_b32_e32 v6, v19, v6
	v_cmp_gt_i32_e32 vcc, 1, v12
	v_cndmask_b32_e32 v6, v16, v6, vcc
	v_or_b32_e32 v13, v20, v13
	v_cmp_gt_i32_e32 vcc, 1, v14
	v_and_b32_e32 v15, 7, v6
	v_cndmask_b32_e32 v13, v18, v13, vcc
	v_cmp_lt_i32_e32 vcc, 5, v15
	v_cmp_eq_u32_e64 s[0:1], 3, v15
	v_lshrrev_b32_e32 v6, 2, v6
	v_and_b32_e32 v16, 7, v13
	s_or_b64 vcc, s[0:1], vcc
	v_cmp_lt_i32_e64 s[2:3], 5, v16
	v_cmp_eq_u32_e64 s[4:5], 3, v16
	v_addc_co_u32_e32 v6, vcc, 0, v6, vcc
	v_lshrrev_b32_e32 v13, 2, v13
	s_or_b64 vcc, s[4:5], s[2:3]
	v_addc_co_u32_e32 v13, vcc, 0, v13, vcc
	v_cmp_gt_i32_e32 vcc, 31, v12
	v_cndmask_b32_e32 v6, v0, v6, vcc
	v_cmp_gt_i32_e32 vcc, 31, v14
	v_lshl_or_b32 v4, v4, 9, v0
	v_cndmask_b32_e32 v13, v0, v13, vcc
	v_cmp_eq_u32_e32 vcc, s18, v12
	v_lshrrev_b32_e32 v7, 16, v7
	v_lshl_or_b32 v10, v10, 9, v0
	v_cndmask_b32_e32 v4, v6, v4, vcc
	v_cmp_eq_u32_e32 vcc, s18, v14
	v_lshrrev_b32_e32 v11, 16, v11
	v_cndmask_b32_e32 v6, v13, v10, vcc
	v_and_or_b32 v4, v7, s17, v4
	v_and_or_b32 v6, v11, s17, v6
	v_and_b32_e32 v4, 0xffff, v4
	v_lshl_or_b32 v4, v6, 16, v4
	global_store_dword v[8:9], v4, off
	global_load_dword v4, v26, s[6:7] offset:144
	v_lshrrev_b32_e32 v6, 16, v5
	v_mov_b32_e32 v10, s12
	v_add_co_u32_e32 v8, vcc, s11, v8
	v_addc_co_u32_e32 v9, vcc, v9, v10, vcc
	s_waitcnt vmcnt(0)
	v_mul_f16_sdwa v7, v6, v4 dst_sel:DWORD dst_unused:UNUSED_PAD src0_sel:DWORD src1_sel:WORD_1
	v_fma_f16 v7, v5, v4, v7
	v_mul_f16_sdwa v5, v5, v4 dst_sel:DWORD dst_unused:UNUSED_PAD src0_sel:DWORD src1_sel:WORD_1
	v_cvt_f32_f16_e32 v7, v7
	v_fma_f16 v4, v4, v6, -v5
	v_cvt_f32_f16_e32 v6, v4
	v_cvt_f64_f32_e32 v[4:5], v7
	v_cvt_f64_f32_e32 v[6:7], v6
	v_mul_f64 v[4:5], v[4:5], s[14:15]
	v_mul_f64 v[6:7], v[6:7], s[14:15]
	v_and_or_b32 v4, v5, s16, v4
	v_cmp_ne_u32_e32 vcc, 0, v4
	v_and_or_b32 v6, v7, s16, v6
	v_lshrrev_b32_e32 v10, 8, v5
	v_bfe_u32 v11, v5, 20, 11
	v_cndmask_b32_e64 v4, 0, 1, vcc
	v_cmp_ne_u32_e32 vcc, 0, v6
	v_lshrrev_b32_e32 v12, 8, v7
	v_bfe_u32 v13, v7, 20, 11
	v_sub_u32_e32 v14, 0x3f1, v11
	v_cndmask_b32_e64 v6, 0, 1, vcc
	v_and_or_b32 v4, v10, s10, v4
	v_sub_u32_e32 v15, 0x3f1, v13
	v_med3_i32 v10, v14, 0, 13
	v_and_or_b32 v6, v12, s10, v6
	v_or_b32_e32 v14, 0x1000, v4
	v_add_u32_e32 v11, 0xfffffc10, v11
	v_med3_i32 v12, v15, 0, 13
	v_cmp_ne_u32_e32 vcc, 0, v4
	v_or_b32_e32 v16, 0x1000, v6
	v_lshrrev_b32_e32 v18, v10, v14
	v_add_u32_e32 v13, 0xfffffc10, v13
	v_lshl_or_b32 v15, v11, 12, v4
	v_cndmask_b32_e64 v4, 0, 1, vcc
	v_cmp_ne_u32_e32 vcc, 0, v6
	v_lshrrev_b32_e32 v19, v12, v16
	v_lshlrev_b32_e32 v10, v10, v18
	v_lshl_or_b32 v17, v13, 12, v6
	v_cndmask_b32_e64 v6, 0, 1, vcc
	v_lshlrev_b32_e32 v12, v12, v19
	v_cmp_ne_u32_e32 vcc, v10, v14
	v_cndmask_b32_e64 v10, 0, 1, vcc
	v_cmp_ne_u32_e32 vcc, v12, v16
	v_cndmask_b32_e64 v12, 0, 1, vcc
	v_or_b32_e32 v10, v18, v10
	v_cmp_gt_i32_e32 vcc, 1, v11
	v_cndmask_b32_e32 v10, v15, v10, vcc
	v_or_b32_e32 v12, v19, v12
	v_cmp_gt_i32_e32 vcc, 1, v13
	v_and_b32_e32 v14, 7, v10
	v_cndmask_b32_e32 v12, v17, v12, vcc
	v_cmp_lt_i32_e32 vcc, 5, v14
	v_cmp_eq_u32_e64 s[0:1], 3, v14
	v_lshrrev_b32_e32 v10, 2, v10
	v_and_b32_e32 v15, 7, v12
	s_or_b64 vcc, s[0:1], vcc
	v_cmp_lt_i32_e64 s[2:3], 5, v15
	v_cmp_eq_u32_e64 s[4:5], 3, v15
	v_addc_co_u32_e32 v10, vcc, 0, v10, vcc
	v_lshrrev_b32_e32 v12, 2, v12
	s_or_b64 vcc, s[4:5], s[2:3]
	v_addc_co_u32_e32 v12, vcc, 0, v12, vcc
	v_cmp_gt_i32_e32 vcc, 31, v11
	v_cndmask_b32_e32 v10, v0, v10, vcc
	v_cmp_gt_i32_e32 vcc, 31, v13
	v_lshl_or_b32 v4, v4, 9, v0
	v_cndmask_b32_e32 v12, v0, v12, vcc
	v_cmp_eq_u32_e32 vcc, s18, v11
	v_lshrrev_b32_e32 v5, 16, v5
	v_lshl_or_b32 v6, v6, 9, v0
	v_cndmask_b32_e32 v4, v10, v4, vcc
	v_cmp_eq_u32_e32 vcc, s18, v13
	v_lshrrev_b32_e32 v7, 16, v7
	v_cndmask_b32_e32 v6, v12, v6, vcc
	v_and_or_b32 v4, v5, s17, v4
	v_and_or_b32 v5, v7, s17, v6
	v_and_b32_e32 v4, 0xffff, v4
	v_lshl_or_b32 v4, v5, 16, v4
	global_store_dword v[8:9], v4, off
	global_load_dword v6, v26, s[6:7] offset:180
	ds_read2_b32 v[4:5], v3 offset0:45 offset1:54
	v_add_co_u32_e32 v8, vcc, s11, v8
	s_waitcnt lgkmcnt(0)
	v_lshrrev_b32_e32 v7, 16, v4
	s_waitcnt vmcnt(0)
	v_mul_f16_sdwa v10, v7, v6 dst_sel:DWORD dst_unused:UNUSED_PAD src0_sel:DWORD src1_sel:WORD_1
	v_fma_f16 v10, v4, v6, v10
	v_mul_f16_sdwa v4, v4, v6 dst_sel:DWORD dst_unused:UNUSED_PAD src0_sel:DWORD src1_sel:WORD_1
	v_cvt_f32_f16_e32 v10, v10
	v_fma_f16 v4, v6, v7, -v4
	v_cvt_f32_f16_e32 v4, v4
	v_cvt_f64_f32_e32 v[6:7], v10
	v_cvt_f64_f32_e32 v[10:11], v4
	v_mov_b32_e32 v4, s12
	v_mul_f64 v[6:7], v[6:7], s[14:15]
	v_addc_co_u32_e32 v9, vcc, v9, v4, vcc
	v_mul_f64 v[10:11], v[10:11], s[14:15]
	v_and_or_b32 v4, v7, s16, v6
	v_cmp_ne_u32_e32 vcc, 0, v4
	v_lshrrev_b32_e32 v6, 8, v7
	v_and_or_b32 v10, v11, s16, v10
	v_bfe_u32 v12, v7, 20, 11
	v_cndmask_b32_e64 v4, 0, 1, vcc
	v_cmp_ne_u32_e32 vcc, 0, v10
	v_lshrrev_b32_e32 v13, 8, v11
	v_bfe_u32 v14, v11, 20, 11
	v_sub_u32_e32 v15, 0x3f1, v12
	v_cndmask_b32_e64 v10, 0, 1, vcc
	v_and_or_b32 v4, v6, s10, v4
	v_sub_u32_e32 v16, 0x3f1, v14
	v_med3_i32 v6, v15, 0, 13
	v_and_or_b32 v10, v13, s10, v10
	v_or_b32_e32 v15, 0x1000, v4
	v_add_u32_e32 v12, 0xfffffc10, v12
	v_med3_i32 v13, v16, 0, 13
	v_cmp_ne_u32_e32 vcc, 0, v4
	v_or_b32_e32 v17, 0x1000, v10
	v_lshrrev_b32_e32 v19, v6, v15
	v_add_u32_e32 v14, 0xfffffc10, v14
	v_lshl_or_b32 v16, v12, 12, v4
	v_cndmask_b32_e64 v4, 0, 1, vcc
	v_cmp_ne_u32_e32 vcc, 0, v10
	v_lshrrev_b32_e32 v20, v13, v17
	v_lshlrev_b32_e32 v6, v6, v19
	v_lshl_or_b32 v18, v14, 12, v10
	v_cndmask_b32_e64 v10, 0, 1, vcc
	v_lshlrev_b32_e32 v13, v13, v20
	v_cmp_ne_u32_e32 vcc, v6, v15
	v_cndmask_b32_e64 v6, 0, 1, vcc
	v_cmp_ne_u32_e32 vcc, v13, v17
	v_cndmask_b32_e64 v13, 0, 1, vcc
	v_or_b32_e32 v6, v19, v6
	v_cmp_gt_i32_e32 vcc, 1, v12
	v_cndmask_b32_e32 v6, v16, v6, vcc
	v_or_b32_e32 v13, v20, v13
	v_cmp_gt_i32_e32 vcc, 1, v14
	v_and_b32_e32 v15, 7, v6
	v_cndmask_b32_e32 v13, v18, v13, vcc
	v_cmp_lt_i32_e32 vcc, 5, v15
	v_cmp_eq_u32_e64 s[0:1], 3, v15
	v_lshrrev_b32_e32 v6, 2, v6
	v_and_b32_e32 v16, 7, v13
	s_or_b64 vcc, s[0:1], vcc
	v_cmp_lt_i32_e64 s[2:3], 5, v16
	v_cmp_eq_u32_e64 s[4:5], 3, v16
	v_addc_co_u32_e32 v6, vcc, 0, v6, vcc
	v_lshrrev_b32_e32 v13, 2, v13
	s_or_b64 vcc, s[4:5], s[2:3]
	v_addc_co_u32_e32 v13, vcc, 0, v13, vcc
	v_cmp_gt_i32_e32 vcc, 31, v12
	v_cndmask_b32_e32 v6, v0, v6, vcc
	v_cmp_gt_i32_e32 vcc, 31, v14
	v_lshl_or_b32 v4, v4, 9, v0
	v_cndmask_b32_e32 v13, v0, v13, vcc
	v_cmp_eq_u32_e32 vcc, s18, v12
	v_lshrrev_b32_e32 v7, 16, v7
	v_lshl_or_b32 v10, v10, 9, v0
	v_cndmask_b32_e32 v4, v6, v4, vcc
	v_cmp_eq_u32_e32 vcc, s18, v14
	v_lshrrev_b32_e32 v11, 16, v11
	v_cndmask_b32_e32 v6, v13, v10, vcc
	v_and_or_b32 v4, v7, s17, v4
	v_and_or_b32 v6, v11, s17, v6
	v_and_b32_e32 v4, 0xffff, v4
	v_lshl_or_b32 v4, v6, 16, v4
	global_store_dword v[8:9], v4, off
	global_load_dword v4, v26, s[6:7] offset:216
	v_lshrrev_b32_e32 v6, 16, v5
	v_mov_b32_e32 v10, s12
	v_add_co_u32_e32 v8, vcc, s11, v8
	v_addc_co_u32_e32 v9, vcc, v9, v10, vcc
	s_waitcnt vmcnt(0)
	v_mul_f16_sdwa v7, v6, v4 dst_sel:DWORD dst_unused:UNUSED_PAD src0_sel:DWORD src1_sel:WORD_1
	v_fma_f16 v7, v5, v4, v7
	v_mul_f16_sdwa v5, v5, v4 dst_sel:DWORD dst_unused:UNUSED_PAD src0_sel:DWORD src1_sel:WORD_1
	v_cvt_f32_f16_e32 v7, v7
	v_fma_f16 v4, v4, v6, -v5
	v_cvt_f32_f16_e32 v6, v4
	v_cvt_f64_f32_e32 v[4:5], v7
	v_cvt_f64_f32_e32 v[6:7], v6
	v_mul_f64 v[4:5], v[4:5], s[14:15]
	v_mul_f64 v[6:7], v[6:7], s[14:15]
	v_and_or_b32 v4, v5, s16, v4
	v_cmp_ne_u32_e32 vcc, 0, v4
	v_and_or_b32 v6, v7, s16, v6
	v_lshrrev_b32_e32 v10, 8, v5
	v_bfe_u32 v11, v5, 20, 11
	v_cndmask_b32_e64 v4, 0, 1, vcc
	v_cmp_ne_u32_e32 vcc, 0, v6
	v_lshrrev_b32_e32 v12, 8, v7
	v_bfe_u32 v13, v7, 20, 11
	v_sub_u32_e32 v14, 0x3f1, v11
	v_cndmask_b32_e64 v6, 0, 1, vcc
	v_and_or_b32 v4, v10, s10, v4
	v_sub_u32_e32 v15, 0x3f1, v13
	v_med3_i32 v10, v14, 0, 13
	v_and_or_b32 v6, v12, s10, v6
	v_or_b32_e32 v14, 0x1000, v4
	v_add_u32_e32 v11, 0xfffffc10, v11
	v_med3_i32 v12, v15, 0, 13
	v_cmp_ne_u32_e32 vcc, 0, v4
	v_or_b32_e32 v16, 0x1000, v6
	v_lshrrev_b32_e32 v18, v10, v14
	v_add_u32_e32 v13, 0xfffffc10, v13
	v_lshl_or_b32 v15, v11, 12, v4
	v_cndmask_b32_e64 v4, 0, 1, vcc
	v_cmp_ne_u32_e32 vcc, 0, v6
	v_lshrrev_b32_e32 v19, v12, v16
	v_lshlrev_b32_e32 v10, v10, v18
	v_lshl_or_b32 v17, v13, 12, v6
	v_cndmask_b32_e64 v6, 0, 1, vcc
	v_lshlrev_b32_e32 v12, v12, v19
	v_cmp_ne_u32_e32 vcc, v10, v14
	v_cndmask_b32_e64 v10, 0, 1, vcc
	v_cmp_ne_u32_e32 vcc, v12, v16
	v_cndmask_b32_e64 v12, 0, 1, vcc
	v_or_b32_e32 v10, v18, v10
	v_cmp_gt_i32_e32 vcc, 1, v11
	v_cndmask_b32_e32 v10, v15, v10, vcc
	v_or_b32_e32 v12, v19, v12
	v_cmp_gt_i32_e32 vcc, 1, v13
	v_and_b32_e32 v14, 7, v10
	v_cndmask_b32_e32 v12, v17, v12, vcc
	v_cmp_lt_i32_e32 vcc, 5, v14
	v_cmp_eq_u32_e64 s[0:1], 3, v14
	v_lshrrev_b32_e32 v10, 2, v10
	v_and_b32_e32 v15, 7, v12
	s_or_b64 vcc, s[0:1], vcc
	v_cmp_lt_i32_e64 s[2:3], 5, v15
	v_cmp_eq_u32_e64 s[4:5], 3, v15
	v_addc_co_u32_e32 v10, vcc, 0, v10, vcc
	v_lshrrev_b32_e32 v12, 2, v12
	s_or_b64 vcc, s[4:5], s[2:3]
	v_addc_co_u32_e32 v12, vcc, 0, v12, vcc
	v_cmp_gt_i32_e32 vcc, 31, v11
	v_cndmask_b32_e32 v10, v0, v10, vcc
	v_cmp_gt_i32_e32 vcc, 31, v13
	v_lshl_or_b32 v4, v4, 9, v0
	v_cndmask_b32_e32 v12, v0, v12, vcc
	v_cmp_eq_u32_e32 vcc, s18, v11
	v_lshrrev_b32_e32 v5, 16, v5
	v_lshl_or_b32 v6, v6, 9, v0
	v_cndmask_b32_e32 v4, v10, v4, vcc
	v_cmp_eq_u32_e32 vcc, s18, v13
	v_lshrrev_b32_e32 v7, 16, v7
	v_cndmask_b32_e32 v6, v12, v6, vcc
	v_and_or_b32 v4, v5, s17, v4
	v_and_or_b32 v5, v7, s17, v6
	v_and_b32_e32 v4, 0xffff, v4
	v_lshl_or_b32 v4, v5, 16, v4
	global_store_dword v[8:9], v4, off
	global_load_dword v6, v26, s[6:7] offset:252
	ds_read2_b32 v[4:5], v3 offset0:63 offset1:72
	v_add_co_u32_e32 v8, vcc, s11, v8
	s_waitcnt lgkmcnt(0)
	v_lshrrev_b32_e32 v7, 16, v4
	s_waitcnt vmcnt(0)
	v_mul_f16_sdwa v10, v7, v6 dst_sel:DWORD dst_unused:UNUSED_PAD src0_sel:DWORD src1_sel:WORD_1
	v_fma_f16 v10, v4, v6, v10
	v_mul_f16_sdwa v4, v4, v6 dst_sel:DWORD dst_unused:UNUSED_PAD src0_sel:DWORD src1_sel:WORD_1
	v_cvt_f32_f16_e32 v10, v10
	v_fma_f16 v4, v6, v7, -v4
	v_cvt_f32_f16_e32 v4, v4
	v_cvt_f64_f32_e32 v[6:7], v10
	v_cvt_f64_f32_e32 v[10:11], v4
	v_mov_b32_e32 v4, s12
	v_mul_f64 v[6:7], v[6:7], s[14:15]
	v_addc_co_u32_e32 v9, vcc, v9, v4, vcc
	v_mul_f64 v[10:11], v[10:11], s[14:15]
	v_and_or_b32 v4, v7, s16, v6
	v_cmp_ne_u32_e32 vcc, 0, v4
	v_lshrrev_b32_e32 v6, 8, v7
	v_and_or_b32 v10, v11, s16, v10
	v_bfe_u32 v12, v7, 20, 11
	v_cndmask_b32_e64 v4, 0, 1, vcc
	v_cmp_ne_u32_e32 vcc, 0, v10
	v_lshrrev_b32_e32 v13, 8, v11
	v_bfe_u32 v14, v11, 20, 11
	v_sub_u32_e32 v15, 0x3f1, v12
	v_cndmask_b32_e64 v10, 0, 1, vcc
	v_and_or_b32 v4, v6, s10, v4
	v_sub_u32_e32 v16, 0x3f1, v14
	v_med3_i32 v6, v15, 0, 13
	v_and_or_b32 v10, v13, s10, v10
	v_or_b32_e32 v15, 0x1000, v4
	v_add_u32_e32 v12, 0xfffffc10, v12
	v_med3_i32 v13, v16, 0, 13
	v_cmp_ne_u32_e32 vcc, 0, v4
	v_or_b32_e32 v17, 0x1000, v10
	v_lshrrev_b32_e32 v19, v6, v15
	v_add_u32_e32 v14, 0xfffffc10, v14
	v_lshl_or_b32 v16, v12, 12, v4
	v_cndmask_b32_e64 v4, 0, 1, vcc
	v_cmp_ne_u32_e32 vcc, 0, v10
	v_lshrrev_b32_e32 v20, v13, v17
	v_lshlrev_b32_e32 v6, v6, v19
	v_lshl_or_b32 v18, v14, 12, v10
	v_cndmask_b32_e64 v10, 0, 1, vcc
	v_lshlrev_b32_e32 v13, v13, v20
	v_cmp_ne_u32_e32 vcc, v6, v15
	v_cndmask_b32_e64 v6, 0, 1, vcc
	v_cmp_ne_u32_e32 vcc, v13, v17
	v_cndmask_b32_e64 v13, 0, 1, vcc
	v_or_b32_e32 v6, v19, v6
	v_cmp_gt_i32_e32 vcc, 1, v12
	v_cndmask_b32_e32 v6, v16, v6, vcc
	v_or_b32_e32 v13, v20, v13
	v_cmp_gt_i32_e32 vcc, 1, v14
	v_and_b32_e32 v15, 7, v6
	v_cndmask_b32_e32 v13, v18, v13, vcc
	v_cmp_lt_i32_e32 vcc, 5, v15
	v_cmp_eq_u32_e64 s[0:1], 3, v15
	v_lshrrev_b32_e32 v6, 2, v6
	v_and_b32_e32 v16, 7, v13
	s_or_b64 vcc, s[0:1], vcc
	v_cmp_lt_i32_e64 s[2:3], 5, v16
	v_cmp_eq_u32_e64 s[4:5], 3, v16
	v_addc_co_u32_e32 v6, vcc, 0, v6, vcc
	v_lshrrev_b32_e32 v13, 2, v13
	s_or_b64 vcc, s[4:5], s[2:3]
	v_addc_co_u32_e32 v13, vcc, 0, v13, vcc
	v_cmp_gt_i32_e32 vcc, 31, v12
	v_cndmask_b32_e32 v6, v0, v6, vcc
	v_cmp_gt_i32_e32 vcc, 31, v14
	v_lshl_or_b32 v4, v4, 9, v0
	v_cndmask_b32_e32 v13, v0, v13, vcc
	v_cmp_eq_u32_e32 vcc, s18, v12
	v_lshrrev_b32_e32 v7, 16, v7
	v_lshl_or_b32 v10, v10, 9, v0
	v_cndmask_b32_e32 v4, v6, v4, vcc
	v_cmp_eq_u32_e32 vcc, s18, v14
	v_lshrrev_b32_e32 v11, 16, v11
	v_cndmask_b32_e32 v6, v13, v10, vcc
	v_and_or_b32 v4, v7, s17, v4
	v_and_or_b32 v6, v11, s17, v6
	v_and_b32_e32 v4, 0xffff, v4
	v_lshl_or_b32 v4, v6, 16, v4
	global_store_dword v[8:9], v4, off
	global_load_dword v4, v26, s[6:7] offset:288
	v_lshrrev_b32_e32 v6, 16, v5
	v_mov_b32_e32 v10, s12
	v_add_co_u32_e32 v8, vcc, s11, v8
	v_addc_co_u32_e32 v9, vcc, v9, v10, vcc
	s_waitcnt vmcnt(0)
	v_mul_f16_sdwa v7, v6, v4 dst_sel:DWORD dst_unused:UNUSED_PAD src0_sel:DWORD src1_sel:WORD_1
	v_fma_f16 v7, v5, v4, v7
	v_mul_f16_sdwa v5, v5, v4 dst_sel:DWORD dst_unused:UNUSED_PAD src0_sel:DWORD src1_sel:WORD_1
	v_cvt_f32_f16_e32 v7, v7
	v_fma_f16 v4, v4, v6, -v5
	v_cvt_f32_f16_e32 v6, v4
	v_cvt_f64_f32_e32 v[4:5], v7
	v_cvt_f64_f32_e32 v[6:7], v6
	v_mul_f64 v[4:5], v[4:5], s[14:15]
	v_mul_f64 v[6:7], v[6:7], s[14:15]
	v_and_or_b32 v4, v5, s16, v4
	v_cmp_ne_u32_e32 vcc, 0, v4
	v_and_or_b32 v6, v7, s16, v6
	v_lshrrev_b32_e32 v10, 8, v5
	v_bfe_u32 v11, v5, 20, 11
	v_cndmask_b32_e64 v4, 0, 1, vcc
	v_cmp_ne_u32_e32 vcc, 0, v6
	v_lshrrev_b32_e32 v12, 8, v7
	v_bfe_u32 v13, v7, 20, 11
	v_sub_u32_e32 v14, 0x3f1, v11
	v_cndmask_b32_e64 v6, 0, 1, vcc
	v_and_or_b32 v4, v10, s10, v4
	v_sub_u32_e32 v15, 0x3f1, v13
	v_med3_i32 v10, v14, 0, 13
	v_and_or_b32 v6, v12, s10, v6
	v_or_b32_e32 v14, 0x1000, v4
	v_add_u32_e32 v11, 0xfffffc10, v11
	v_med3_i32 v12, v15, 0, 13
	v_cmp_ne_u32_e32 vcc, 0, v4
	v_or_b32_e32 v16, 0x1000, v6
	v_lshrrev_b32_e32 v18, v10, v14
	v_add_u32_e32 v13, 0xfffffc10, v13
	v_lshl_or_b32 v15, v11, 12, v4
	v_cndmask_b32_e64 v4, 0, 1, vcc
	v_cmp_ne_u32_e32 vcc, 0, v6
	v_lshrrev_b32_e32 v19, v12, v16
	v_lshlrev_b32_e32 v10, v10, v18
	v_lshl_or_b32 v17, v13, 12, v6
	v_cndmask_b32_e64 v6, 0, 1, vcc
	v_lshlrev_b32_e32 v12, v12, v19
	v_cmp_ne_u32_e32 vcc, v10, v14
	v_cndmask_b32_e64 v10, 0, 1, vcc
	v_cmp_ne_u32_e32 vcc, v12, v16
	v_cndmask_b32_e64 v12, 0, 1, vcc
	v_or_b32_e32 v10, v18, v10
	v_cmp_gt_i32_e32 vcc, 1, v11
	v_cndmask_b32_e32 v10, v15, v10, vcc
	v_or_b32_e32 v12, v19, v12
	v_cmp_gt_i32_e32 vcc, 1, v13
	v_and_b32_e32 v14, 7, v10
	v_cndmask_b32_e32 v12, v17, v12, vcc
	v_cmp_lt_i32_e32 vcc, 5, v14
	v_cmp_eq_u32_e64 s[0:1], 3, v14
	v_lshrrev_b32_e32 v10, 2, v10
	v_and_b32_e32 v15, 7, v12
	s_or_b64 vcc, s[0:1], vcc
	v_cmp_lt_i32_e64 s[2:3], 5, v15
	v_cmp_eq_u32_e64 s[4:5], 3, v15
	v_addc_co_u32_e32 v10, vcc, 0, v10, vcc
	v_lshrrev_b32_e32 v12, 2, v12
	s_or_b64 vcc, s[4:5], s[2:3]
	v_addc_co_u32_e32 v12, vcc, 0, v12, vcc
	v_cmp_gt_i32_e32 vcc, 31, v11
	v_cndmask_b32_e32 v10, v0, v10, vcc
	v_cmp_gt_i32_e32 vcc, 31, v13
	v_lshl_or_b32 v4, v4, 9, v0
	v_cndmask_b32_e32 v12, v0, v12, vcc
	v_cmp_eq_u32_e32 vcc, s18, v11
	v_lshrrev_b32_e32 v5, 16, v5
	v_lshl_or_b32 v6, v6, 9, v0
	v_cndmask_b32_e32 v4, v10, v4, vcc
	v_cmp_eq_u32_e32 vcc, s18, v13
	v_lshrrev_b32_e32 v7, 16, v7
	v_cndmask_b32_e32 v6, v12, v6, vcc
	v_and_or_b32 v4, v5, s17, v4
	v_and_or_b32 v5, v7, s17, v6
	v_and_b32_e32 v4, 0xffff, v4
	v_lshl_or_b32 v4, v5, 16, v4
	global_store_dword v[8:9], v4, off
	global_load_dword v6, v26, s[6:7] offset:324
	ds_read2_b32 v[4:5], v3 offset0:81 offset1:90
	v_add_co_u32_e32 v8, vcc, s11, v8
	s_waitcnt lgkmcnt(0)
	v_lshrrev_b32_e32 v7, 16, v4
	s_waitcnt vmcnt(0)
	v_mul_f16_sdwa v10, v7, v6 dst_sel:DWORD dst_unused:UNUSED_PAD src0_sel:DWORD src1_sel:WORD_1
	v_fma_f16 v10, v4, v6, v10
	v_mul_f16_sdwa v4, v4, v6 dst_sel:DWORD dst_unused:UNUSED_PAD src0_sel:DWORD src1_sel:WORD_1
	v_cvt_f32_f16_e32 v10, v10
	v_fma_f16 v4, v6, v7, -v4
	v_cvt_f32_f16_e32 v4, v4
	v_cvt_f64_f32_e32 v[6:7], v10
	v_cvt_f64_f32_e32 v[10:11], v4
	v_mov_b32_e32 v4, s12
	v_mul_f64 v[6:7], v[6:7], s[14:15]
	v_addc_co_u32_e32 v9, vcc, v9, v4, vcc
	v_mul_f64 v[10:11], v[10:11], s[14:15]
	v_and_or_b32 v4, v7, s16, v6
	v_cmp_ne_u32_e32 vcc, 0, v4
	v_lshrrev_b32_e32 v6, 8, v7
	v_and_or_b32 v10, v11, s16, v10
	v_bfe_u32 v12, v7, 20, 11
	v_cndmask_b32_e64 v4, 0, 1, vcc
	v_cmp_ne_u32_e32 vcc, 0, v10
	v_lshrrev_b32_e32 v13, 8, v11
	v_bfe_u32 v14, v11, 20, 11
	v_sub_u32_e32 v15, 0x3f1, v12
	v_cndmask_b32_e64 v10, 0, 1, vcc
	v_and_or_b32 v4, v6, s10, v4
	v_sub_u32_e32 v16, 0x3f1, v14
	v_med3_i32 v6, v15, 0, 13
	v_and_or_b32 v10, v13, s10, v10
	v_or_b32_e32 v15, 0x1000, v4
	v_add_u32_e32 v12, 0xfffffc10, v12
	v_med3_i32 v13, v16, 0, 13
	v_cmp_ne_u32_e32 vcc, 0, v4
	v_or_b32_e32 v17, 0x1000, v10
	v_lshrrev_b32_e32 v19, v6, v15
	v_add_u32_e32 v14, 0xfffffc10, v14
	v_lshl_or_b32 v16, v12, 12, v4
	v_cndmask_b32_e64 v4, 0, 1, vcc
	v_cmp_ne_u32_e32 vcc, 0, v10
	v_lshrrev_b32_e32 v20, v13, v17
	v_lshlrev_b32_e32 v6, v6, v19
	v_lshl_or_b32 v18, v14, 12, v10
	v_cndmask_b32_e64 v10, 0, 1, vcc
	v_lshlrev_b32_e32 v13, v13, v20
	v_cmp_ne_u32_e32 vcc, v6, v15
	v_cndmask_b32_e64 v6, 0, 1, vcc
	v_cmp_ne_u32_e32 vcc, v13, v17
	v_cndmask_b32_e64 v13, 0, 1, vcc
	v_or_b32_e32 v6, v19, v6
	v_cmp_gt_i32_e32 vcc, 1, v12
	v_cndmask_b32_e32 v6, v16, v6, vcc
	v_or_b32_e32 v13, v20, v13
	v_cmp_gt_i32_e32 vcc, 1, v14
	v_and_b32_e32 v15, 7, v6
	v_cndmask_b32_e32 v13, v18, v13, vcc
	v_cmp_lt_i32_e32 vcc, 5, v15
	v_cmp_eq_u32_e64 s[0:1], 3, v15
	v_lshrrev_b32_e32 v6, 2, v6
	v_and_b32_e32 v16, 7, v13
	s_or_b64 vcc, s[0:1], vcc
	v_cmp_lt_i32_e64 s[2:3], 5, v16
	v_cmp_eq_u32_e64 s[4:5], 3, v16
	v_addc_co_u32_e32 v6, vcc, 0, v6, vcc
	v_lshrrev_b32_e32 v13, 2, v13
	s_or_b64 vcc, s[4:5], s[2:3]
	v_addc_co_u32_e32 v13, vcc, 0, v13, vcc
	v_cmp_gt_i32_e32 vcc, 31, v12
	v_cndmask_b32_e32 v6, v0, v6, vcc
	v_cmp_gt_i32_e32 vcc, 31, v14
	v_lshl_or_b32 v4, v4, 9, v0
	v_cndmask_b32_e32 v13, v0, v13, vcc
	v_cmp_eq_u32_e32 vcc, s18, v12
	v_lshrrev_b32_e32 v7, 16, v7
	v_lshl_or_b32 v10, v10, 9, v0
	v_cndmask_b32_e32 v4, v6, v4, vcc
	v_cmp_eq_u32_e32 vcc, s18, v14
	v_lshrrev_b32_e32 v11, 16, v11
	v_cndmask_b32_e32 v6, v13, v10, vcc
	v_and_or_b32 v4, v7, s17, v4
	v_and_or_b32 v6, v11, s17, v6
	v_and_b32_e32 v4, 0xffff, v4
	v_lshl_or_b32 v4, v6, 16, v4
	global_store_dword v[8:9], v4, off
	global_load_dword v4, v26, s[6:7] offset:360
	v_lshrrev_b32_e32 v6, 16, v5
	v_mov_b32_e32 v10, s12
	v_add_co_u32_e32 v8, vcc, s11, v8
	v_addc_co_u32_e32 v9, vcc, v9, v10, vcc
	s_waitcnt vmcnt(0)
	v_mul_f16_sdwa v7, v6, v4 dst_sel:DWORD dst_unused:UNUSED_PAD src0_sel:DWORD src1_sel:WORD_1
	v_fma_f16 v7, v5, v4, v7
	v_mul_f16_sdwa v5, v5, v4 dst_sel:DWORD dst_unused:UNUSED_PAD src0_sel:DWORD src1_sel:WORD_1
	v_cvt_f32_f16_e32 v7, v7
	v_fma_f16 v4, v4, v6, -v5
	v_cvt_f32_f16_e32 v6, v4
	v_cvt_f64_f32_e32 v[4:5], v7
	v_cvt_f64_f32_e32 v[6:7], v6
	v_mul_f64 v[4:5], v[4:5], s[14:15]
	v_mul_f64 v[6:7], v[6:7], s[14:15]
	v_and_or_b32 v4, v5, s16, v4
	v_cmp_ne_u32_e32 vcc, 0, v4
	v_and_or_b32 v6, v7, s16, v6
	v_lshrrev_b32_e32 v10, 8, v5
	v_bfe_u32 v11, v5, 20, 11
	v_cndmask_b32_e64 v4, 0, 1, vcc
	v_cmp_ne_u32_e32 vcc, 0, v6
	v_lshrrev_b32_e32 v12, 8, v7
	v_bfe_u32 v13, v7, 20, 11
	v_sub_u32_e32 v14, 0x3f1, v11
	v_cndmask_b32_e64 v6, 0, 1, vcc
	v_and_or_b32 v4, v10, s10, v4
	v_sub_u32_e32 v15, 0x3f1, v13
	v_med3_i32 v10, v14, 0, 13
	v_and_or_b32 v6, v12, s10, v6
	v_or_b32_e32 v14, 0x1000, v4
	v_add_u32_e32 v11, 0xfffffc10, v11
	v_med3_i32 v12, v15, 0, 13
	v_cmp_ne_u32_e32 vcc, 0, v4
	v_or_b32_e32 v16, 0x1000, v6
	v_lshrrev_b32_e32 v18, v10, v14
	v_add_u32_e32 v13, 0xfffffc10, v13
	v_lshl_or_b32 v15, v11, 12, v4
	v_cndmask_b32_e64 v4, 0, 1, vcc
	v_cmp_ne_u32_e32 vcc, 0, v6
	v_lshrrev_b32_e32 v19, v12, v16
	v_lshlrev_b32_e32 v10, v10, v18
	v_lshl_or_b32 v17, v13, 12, v6
	v_cndmask_b32_e64 v6, 0, 1, vcc
	v_lshlrev_b32_e32 v12, v12, v19
	v_cmp_ne_u32_e32 vcc, v10, v14
	v_cndmask_b32_e64 v10, 0, 1, vcc
	v_cmp_ne_u32_e32 vcc, v12, v16
	v_cndmask_b32_e64 v12, 0, 1, vcc
	v_or_b32_e32 v10, v18, v10
	v_cmp_gt_i32_e32 vcc, 1, v11
	v_cndmask_b32_e32 v10, v15, v10, vcc
	v_or_b32_e32 v12, v19, v12
	v_cmp_gt_i32_e32 vcc, 1, v13
	v_and_b32_e32 v14, 7, v10
	v_cndmask_b32_e32 v12, v17, v12, vcc
	v_cmp_lt_i32_e32 vcc, 5, v14
	v_cmp_eq_u32_e64 s[0:1], 3, v14
	v_lshrrev_b32_e32 v10, 2, v10
	v_and_b32_e32 v15, 7, v12
	s_or_b64 vcc, s[0:1], vcc
	v_cmp_lt_i32_e64 s[2:3], 5, v15
	v_cmp_eq_u32_e64 s[4:5], 3, v15
	v_addc_co_u32_e32 v10, vcc, 0, v10, vcc
	v_lshrrev_b32_e32 v12, 2, v12
	s_or_b64 vcc, s[4:5], s[2:3]
	v_addc_co_u32_e32 v12, vcc, 0, v12, vcc
	v_cmp_gt_i32_e32 vcc, 31, v11
	v_cndmask_b32_e32 v10, v0, v10, vcc
	v_cmp_gt_i32_e32 vcc, 31, v13
	v_lshl_or_b32 v4, v4, 9, v0
	v_cndmask_b32_e32 v12, v0, v12, vcc
	v_cmp_eq_u32_e32 vcc, s18, v11
	v_lshrrev_b32_e32 v5, 16, v5
	v_lshl_or_b32 v6, v6, 9, v0
	v_cndmask_b32_e32 v4, v10, v4, vcc
	v_cmp_eq_u32_e32 vcc, s18, v13
	v_lshrrev_b32_e32 v7, 16, v7
	v_cndmask_b32_e32 v6, v12, v6, vcc
	v_and_or_b32 v4, v5, s17, v4
	v_and_or_b32 v5, v7, s17, v6
	v_and_b32_e32 v4, 0xffff, v4
	v_lshl_or_b32 v4, v5, 16, v4
	global_store_dword v[8:9], v4, off
	global_load_dword v6, v26, s[6:7] offset:396
	ds_read2_b32 v[4:5], v3 offset0:99 offset1:108
	v_add_co_u32_e32 v8, vcc, s11, v8
	s_waitcnt lgkmcnt(0)
	v_lshrrev_b32_e32 v7, 16, v4
	s_waitcnt vmcnt(0)
	v_mul_f16_sdwa v10, v7, v6 dst_sel:DWORD dst_unused:UNUSED_PAD src0_sel:DWORD src1_sel:WORD_1
	v_fma_f16 v10, v4, v6, v10
	v_mul_f16_sdwa v4, v4, v6 dst_sel:DWORD dst_unused:UNUSED_PAD src0_sel:DWORD src1_sel:WORD_1
	v_cvt_f32_f16_e32 v10, v10
	v_fma_f16 v4, v6, v7, -v4
	v_cvt_f32_f16_e32 v4, v4
	v_cvt_f64_f32_e32 v[6:7], v10
	v_cvt_f64_f32_e32 v[10:11], v4
	v_mov_b32_e32 v4, s12
	v_mul_f64 v[6:7], v[6:7], s[14:15]
	v_addc_co_u32_e32 v9, vcc, v9, v4, vcc
	v_mul_f64 v[10:11], v[10:11], s[14:15]
	v_and_or_b32 v4, v7, s16, v6
	v_cmp_ne_u32_e32 vcc, 0, v4
	v_lshrrev_b32_e32 v6, 8, v7
	v_and_or_b32 v10, v11, s16, v10
	v_bfe_u32 v12, v7, 20, 11
	v_cndmask_b32_e64 v4, 0, 1, vcc
	v_cmp_ne_u32_e32 vcc, 0, v10
	v_lshrrev_b32_e32 v13, 8, v11
	v_bfe_u32 v14, v11, 20, 11
	v_sub_u32_e32 v15, 0x3f1, v12
	v_cndmask_b32_e64 v10, 0, 1, vcc
	v_and_or_b32 v4, v6, s10, v4
	v_sub_u32_e32 v16, 0x3f1, v14
	v_med3_i32 v6, v15, 0, 13
	v_and_or_b32 v10, v13, s10, v10
	v_or_b32_e32 v15, 0x1000, v4
	v_add_u32_e32 v12, 0xfffffc10, v12
	v_med3_i32 v13, v16, 0, 13
	v_cmp_ne_u32_e32 vcc, 0, v4
	v_or_b32_e32 v17, 0x1000, v10
	v_lshrrev_b32_e32 v19, v6, v15
	v_add_u32_e32 v14, 0xfffffc10, v14
	v_lshl_or_b32 v16, v12, 12, v4
	v_cndmask_b32_e64 v4, 0, 1, vcc
	v_cmp_ne_u32_e32 vcc, 0, v10
	v_lshrrev_b32_e32 v20, v13, v17
	v_lshlrev_b32_e32 v6, v6, v19
	v_lshl_or_b32 v18, v14, 12, v10
	v_cndmask_b32_e64 v10, 0, 1, vcc
	v_lshlrev_b32_e32 v13, v13, v20
	v_cmp_ne_u32_e32 vcc, v6, v15
	v_cndmask_b32_e64 v6, 0, 1, vcc
	v_cmp_ne_u32_e32 vcc, v13, v17
	v_cndmask_b32_e64 v13, 0, 1, vcc
	v_or_b32_e32 v6, v19, v6
	v_cmp_gt_i32_e32 vcc, 1, v12
	v_cndmask_b32_e32 v6, v16, v6, vcc
	v_or_b32_e32 v13, v20, v13
	v_cmp_gt_i32_e32 vcc, 1, v14
	v_and_b32_e32 v15, 7, v6
	v_cndmask_b32_e32 v13, v18, v13, vcc
	v_cmp_lt_i32_e32 vcc, 5, v15
	v_cmp_eq_u32_e64 s[0:1], 3, v15
	v_lshrrev_b32_e32 v6, 2, v6
	v_and_b32_e32 v16, 7, v13
	s_or_b64 vcc, s[0:1], vcc
	v_cmp_lt_i32_e64 s[2:3], 5, v16
	v_cmp_eq_u32_e64 s[4:5], 3, v16
	v_addc_co_u32_e32 v6, vcc, 0, v6, vcc
	v_lshrrev_b32_e32 v13, 2, v13
	s_or_b64 vcc, s[4:5], s[2:3]
	v_addc_co_u32_e32 v13, vcc, 0, v13, vcc
	v_cmp_gt_i32_e32 vcc, 31, v12
	v_cndmask_b32_e32 v6, v0, v6, vcc
	v_cmp_gt_i32_e32 vcc, 31, v14
	v_lshl_or_b32 v4, v4, 9, v0
	v_cndmask_b32_e32 v13, v0, v13, vcc
	v_cmp_eq_u32_e32 vcc, s18, v12
	v_lshrrev_b32_e32 v7, 16, v7
	v_lshl_or_b32 v10, v10, 9, v0
	v_cndmask_b32_e32 v4, v6, v4, vcc
	v_cmp_eq_u32_e32 vcc, s18, v14
	v_lshrrev_b32_e32 v11, 16, v11
	v_cndmask_b32_e32 v6, v13, v10, vcc
	v_and_or_b32 v4, v7, s17, v4
	v_and_or_b32 v6, v11, s17, v6
	v_and_b32_e32 v4, 0xffff, v4
	v_lshl_or_b32 v4, v6, 16, v4
	global_store_dword v[8:9], v4, off
	global_load_dword v4, v26, s[6:7] offset:432
	v_lshrrev_b32_e32 v6, 16, v5
	v_mov_b32_e32 v10, s12
	v_add_co_u32_e32 v8, vcc, s11, v8
	v_addc_co_u32_e32 v9, vcc, v9, v10, vcc
	s_waitcnt vmcnt(0)
	v_mul_f16_sdwa v7, v6, v4 dst_sel:DWORD dst_unused:UNUSED_PAD src0_sel:DWORD src1_sel:WORD_1
	v_fma_f16 v7, v5, v4, v7
	v_mul_f16_sdwa v5, v5, v4 dst_sel:DWORD dst_unused:UNUSED_PAD src0_sel:DWORD src1_sel:WORD_1
	v_cvt_f32_f16_e32 v7, v7
	v_fma_f16 v4, v4, v6, -v5
	v_cvt_f32_f16_e32 v6, v4
	v_cvt_f64_f32_e32 v[4:5], v7
	v_cvt_f64_f32_e32 v[6:7], v6
	v_mul_f64 v[4:5], v[4:5], s[14:15]
	v_mul_f64 v[6:7], v[6:7], s[14:15]
	v_and_or_b32 v4, v5, s16, v4
	v_cmp_ne_u32_e32 vcc, 0, v4
	v_and_or_b32 v6, v7, s16, v6
	v_lshrrev_b32_e32 v10, 8, v5
	v_bfe_u32 v11, v5, 20, 11
	v_cndmask_b32_e64 v4, 0, 1, vcc
	v_cmp_ne_u32_e32 vcc, 0, v6
	v_lshrrev_b32_e32 v12, 8, v7
	v_bfe_u32 v13, v7, 20, 11
	v_sub_u32_e32 v14, 0x3f1, v11
	v_cndmask_b32_e64 v6, 0, 1, vcc
	v_and_or_b32 v4, v10, s10, v4
	v_sub_u32_e32 v15, 0x3f1, v13
	v_med3_i32 v10, v14, 0, 13
	v_and_or_b32 v6, v12, s10, v6
	v_or_b32_e32 v14, 0x1000, v4
	v_add_u32_e32 v11, 0xfffffc10, v11
	v_med3_i32 v12, v15, 0, 13
	v_cmp_ne_u32_e32 vcc, 0, v4
	v_or_b32_e32 v16, 0x1000, v6
	v_lshrrev_b32_e32 v18, v10, v14
	v_add_u32_e32 v13, 0xfffffc10, v13
	v_lshl_or_b32 v15, v11, 12, v4
	v_cndmask_b32_e64 v4, 0, 1, vcc
	v_cmp_ne_u32_e32 vcc, 0, v6
	v_lshrrev_b32_e32 v19, v12, v16
	v_lshlrev_b32_e32 v10, v10, v18
	v_lshl_or_b32 v17, v13, 12, v6
	v_cndmask_b32_e64 v6, 0, 1, vcc
	v_lshlrev_b32_e32 v12, v12, v19
	v_cmp_ne_u32_e32 vcc, v10, v14
	v_cndmask_b32_e64 v10, 0, 1, vcc
	v_cmp_ne_u32_e32 vcc, v12, v16
	v_cndmask_b32_e64 v12, 0, 1, vcc
	v_or_b32_e32 v10, v18, v10
	v_cmp_gt_i32_e32 vcc, 1, v11
	v_cndmask_b32_e32 v10, v15, v10, vcc
	v_or_b32_e32 v12, v19, v12
	v_cmp_gt_i32_e32 vcc, 1, v13
	v_and_b32_e32 v14, 7, v10
	v_cndmask_b32_e32 v12, v17, v12, vcc
	v_cmp_lt_i32_e32 vcc, 5, v14
	v_cmp_eq_u32_e64 s[0:1], 3, v14
	v_lshrrev_b32_e32 v10, 2, v10
	v_and_b32_e32 v15, 7, v12
	s_or_b64 vcc, s[0:1], vcc
	v_cmp_lt_i32_e64 s[2:3], 5, v15
	v_cmp_eq_u32_e64 s[4:5], 3, v15
	v_addc_co_u32_e32 v10, vcc, 0, v10, vcc
	v_lshrrev_b32_e32 v12, 2, v12
	s_or_b64 vcc, s[4:5], s[2:3]
	v_addc_co_u32_e32 v12, vcc, 0, v12, vcc
	v_cmp_gt_i32_e32 vcc, 31, v11
	v_cndmask_b32_e32 v10, v0, v10, vcc
	v_cmp_gt_i32_e32 vcc, 31, v13
	v_lshl_or_b32 v4, v4, 9, v0
	v_cndmask_b32_e32 v12, v0, v12, vcc
	v_cmp_eq_u32_e32 vcc, s18, v11
	v_lshrrev_b32_e32 v5, 16, v5
	v_lshl_or_b32 v6, v6, 9, v0
	v_cndmask_b32_e32 v4, v10, v4, vcc
	v_cmp_eq_u32_e32 vcc, s18, v13
	v_lshrrev_b32_e32 v7, 16, v7
	v_cndmask_b32_e32 v6, v12, v6, vcc
	v_and_or_b32 v4, v5, s17, v4
	v_and_or_b32 v5, v7, s17, v6
	v_and_b32_e32 v4, 0xffff, v4
	v_lshl_or_b32 v4, v5, 16, v4
	global_store_dword v[8:9], v4, off
	global_load_dword v6, v26, s[6:7] offset:468
	ds_read2_b32 v[4:5], v3 offset0:117 offset1:126
	v_add_co_u32_e32 v8, vcc, s11, v8
	s_waitcnt lgkmcnt(0)
	v_lshrrev_b32_e32 v7, 16, v4
	s_waitcnt vmcnt(0)
	v_mul_f16_sdwa v10, v7, v6 dst_sel:DWORD dst_unused:UNUSED_PAD src0_sel:DWORD src1_sel:WORD_1
	v_fma_f16 v10, v4, v6, v10
	v_mul_f16_sdwa v4, v4, v6 dst_sel:DWORD dst_unused:UNUSED_PAD src0_sel:DWORD src1_sel:WORD_1
	v_cvt_f32_f16_e32 v10, v10
	v_fma_f16 v4, v6, v7, -v4
	v_cvt_f32_f16_e32 v4, v4
	v_cvt_f64_f32_e32 v[6:7], v10
	v_cvt_f64_f32_e32 v[10:11], v4
	v_mov_b32_e32 v4, s12
	v_mul_f64 v[6:7], v[6:7], s[14:15]
	v_addc_co_u32_e32 v9, vcc, v9, v4, vcc
	v_mul_f64 v[10:11], v[10:11], s[14:15]
	v_and_or_b32 v4, v7, s16, v6
	v_cmp_ne_u32_e32 vcc, 0, v4
	v_lshrrev_b32_e32 v6, 8, v7
	v_and_or_b32 v10, v11, s16, v10
	v_bfe_u32 v12, v7, 20, 11
	v_cndmask_b32_e64 v4, 0, 1, vcc
	v_cmp_ne_u32_e32 vcc, 0, v10
	v_lshrrev_b32_e32 v13, 8, v11
	v_bfe_u32 v14, v11, 20, 11
	v_sub_u32_e32 v15, 0x3f1, v12
	v_cndmask_b32_e64 v10, 0, 1, vcc
	v_and_or_b32 v4, v6, s10, v4
	v_sub_u32_e32 v16, 0x3f1, v14
	v_med3_i32 v6, v15, 0, 13
	v_and_or_b32 v10, v13, s10, v10
	v_or_b32_e32 v15, 0x1000, v4
	v_add_u32_e32 v12, 0xfffffc10, v12
	v_med3_i32 v13, v16, 0, 13
	v_cmp_ne_u32_e32 vcc, 0, v4
	v_or_b32_e32 v17, 0x1000, v10
	v_lshrrev_b32_e32 v19, v6, v15
	v_add_u32_e32 v14, 0xfffffc10, v14
	v_lshl_or_b32 v16, v12, 12, v4
	v_cndmask_b32_e64 v4, 0, 1, vcc
	v_cmp_ne_u32_e32 vcc, 0, v10
	v_lshrrev_b32_e32 v20, v13, v17
	v_lshlrev_b32_e32 v6, v6, v19
	v_lshl_or_b32 v18, v14, 12, v10
	v_cndmask_b32_e64 v10, 0, 1, vcc
	v_lshlrev_b32_e32 v13, v13, v20
	v_cmp_ne_u32_e32 vcc, v6, v15
	v_cndmask_b32_e64 v6, 0, 1, vcc
	v_cmp_ne_u32_e32 vcc, v13, v17
	v_cndmask_b32_e64 v13, 0, 1, vcc
	v_or_b32_e32 v6, v19, v6
	v_cmp_gt_i32_e32 vcc, 1, v12
	v_cndmask_b32_e32 v6, v16, v6, vcc
	v_or_b32_e32 v13, v20, v13
	v_cmp_gt_i32_e32 vcc, 1, v14
	v_and_b32_e32 v15, 7, v6
	v_cndmask_b32_e32 v13, v18, v13, vcc
	v_cmp_lt_i32_e32 vcc, 5, v15
	v_cmp_eq_u32_e64 s[0:1], 3, v15
	v_lshrrev_b32_e32 v6, 2, v6
	v_and_b32_e32 v16, 7, v13
	s_or_b64 vcc, s[0:1], vcc
	v_cmp_lt_i32_e64 s[2:3], 5, v16
	v_cmp_eq_u32_e64 s[4:5], 3, v16
	v_addc_co_u32_e32 v6, vcc, 0, v6, vcc
	v_lshrrev_b32_e32 v13, 2, v13
	s_or_b64 vcc, s[4:5], s[2:3]
	v_addc_co_u32_e32 v13, vcc, 0, v13, vcc
	v_cmp_gt_i32_e32 vcc, 31, v12
	v_cndmask_b32_e32 v6, v0, v6, vcc
	v_cmp_gt_i32_e32 vcc, 31, v14
	v_lshl_or_b32 v4, v4, 9, v0
	v_cndmask_b32_e32 v13, v0, v13, vcc
	v_cmp_eq_u32_e32 vcc, s18, v12
	v_lshrrev_b32_e32 v7, 16, v7
	v_lshl_or_b32 v10, v10, 9, v0
	v_cndmask_b32_e32 v4, v6, v4, vcc
	v_cmp_eq_u32_e32 vcc, s18, v14
	v_lshrrev_b32_e32 v11, 16, v11
	v_cndmask_b32_e32 v6, v13, v10, vcc
	v_and_or_b32 v4, v7, s17, v4
	v_and_or_b32 v6, v11, s17, v6
	v_and_b32_e32 v4, 0xffff, v4
	v_lshl_or_b32 v4, v6, 16, v4
	global_store_dword v[8:9], v4, off
	global_load_dword v4, v26, s[6:7] offset:504
	v_lshrrev_b32_e32 v6, 16, v5
	v_mov_b32_e32 v10, s12
	v_add_co_u32_e32 v8, vcc, s11, v8
	v_addc_co_u32_e32 v9, vcc, v9, v10, vcc
	s_waitcnt vmcnt(0)
	v_mul_f16_sdwa v7, v6, v4 dst_sel:DWORD dst_unused:UNUSED_PAD src0_sel:DWORD src1_sel:WORD_1
	v_fma_f16 v7, v5, v4, v7
	v_mul_f16_sdwa v5, v5, v4 dst_sel:DWORD dst_unused:UNUSED_PAD src0_sel:DWORD src1_sel:WORD_1
	v_cvt_f32_f16_e32 v7, v7
	v_fma_f16 v4, v4, v6, -v5
	v_cvt_f32_f16_e32 v6, v4
	v_cvt_f64_f32_e32 v[4:5], v7
	v_cvt_f64_f32_e32 v[6:7], v6
	v_mul_f64 v[4:5], v[4:5], s[14:15]
	v_mul_f64 v[6:7], v[6:7], s[14:15]
	v_and_or_b32 v4, v5, s16, v4
	v_cmp_ne_u32_e32 vcc, 0, v4
	v_and_or_b32 v6, v7, s16, v6
	v_lshrrev_b32_e32 v10, 8, v5
	v_bfe_u32 v11, v5, 20, 11
	v_cndmask_b32_e64 v4, 0, 1, vcc
	v_cmp_ne_u32_e32 vcc, 0, v6
	v_lshrrev_b32_e32 v12, 8, v7
	v_bfe_u32 v13, v7, 20, 11
	v_sub_u32_e32 v14, 0x3f1, v11
	v_cndmask_b32_e64 v6, 0, 1, vcc
	v_and_or_b32 v4, v10, s10, v4
	v_sub_u32_e32 v15, 0x3f1, v13
	v_med3_i32 v10, v14, 0, 13
	v_and_or_b32 v6, v12, s10, v6
	v_or_b32_e32 v14, 0x1000, v4
	v_add_u32_e32 v11, 0xfffffc10, v11
	v_med3_i32 v12, v15, 0, 13
	v_cmp_ne_u32_e32 vcc, 0, v4
	v_or_b32_e32 v16, 0x1000, v6
	v_lshrrev_b32_e32 v18, v10, v14
	v_add_u32_e32 v13, 0xfffffc10, v13
	v_lshl_or_b32 v15, v11, 12, v4
	v_cndmask_b32_e64 v4, 0, 1, vcc
	v_cmp_ne_u32_e32 vcc, 0, v6
	v_lshrrev_b32_e32 v19, v12, v16
	v_lshlrev_b32_e32 v10, v10, v18
	v_lshl_or_b32 v17, v13, 12, v6
	v_cndmask_b32_e64 v6, 0, 1, vcc
	v_lshlrev_b32_e32 v12, v12, v19
	v_cmp_ne_u32_e32 vcc, v10, v14
	v_cndmask_b32_e64 v10, 0, 1, vcc
	v_cmp_ne_u32_e32 vcc, v12, v16
	v_cndmask_b32_e64 v12, 0, 1, vcc
	v_or_b32_e32 v10, v18, v10
	v_cmp_gt_i32_e32 vcc, 1, v11
	v_cndmask_b32_e32 v10, v15, v10, vcc
	v_or_b32_e32 v12, v19, v12
	v_cmp_gt_i32_e32 vcc, 1, v13
	v_and_b32_e32 v14, 7, v10
	v_cndmask_b32_e32 v12, v17, v12, vcc
	v_cmp_lt_i32_e32 vcc, 5, v14
	v_cmp_eq_u32_e64 s[0:1], 3, v14
	v_lshrrev_b32_e32 v10, 2, v10
	v_and_b32_e32 v15, 7, v12
	s_or_b64 vcc, s[0:1], vcc
	v_cmp_lt_i32_e64 s[2:3], 5, v15
	v_cmp_eq_u32_e64 s[4:5], 3, v15
	v_addc_co_u32_e32 v10, vcc, 0, v10, vcc
	v_lshrrev_b32_e32 v12, 2, v12
	s_or_b64 vcc, s[4:5], s[2:3]
	v_addc_co_u32_e32 v12, vcc, 0, v12, vcc
	v_cmp_gt_i32_e32 vcc, 31, v11
	v_cndmask_b32_e32 v10, v0, v10, vcc
	v_cmp_gt_i32_e32 vcc, 31, v13
	v_lshl_or_b32 v4, v4, 9, v0
	v_cndmask_b32_e32 v12, v0, v12, vcc
	v_cmp_eq_u32_e32 vcc, s18, v11
	v_lshrrev_b32_e32 v5, 16, v5
	v_lshl_or_b32 v6, v6, 9, v0
	v_cndmask_b32_e32 v4, v10, v4, vcc
	v_cmp_eq_u32_e32 vcc, s18, v13
	v_lshrrev_b32_e32 v7, 16, v7
	v_cndmask_b32_e32 v6, v12, v6, vcc
	v_and_or_b32 v4, v5, s17, v4
	v_and_or_b32 v5, v7, s17, v6
	v_and_b32_e32 v4, 0xffff, v4
	v_lshl_or_b32 v4, v5, 16, v4
	global_store_dword v[8:9], v4, off
	global_load_dword v5, v26, s[6:7] offset:540
	ds_read2_b32 v[3:4], v3 offset0:135 offset1:144
	s_waitcnt lgkmcnt(0)
	v_lshrrev_b32_e32 v6, 16, v3
	s_waitcnt vmcnt(0)
	v_mul_f16_sdwa v7, v6, v5 dst_sel:DWORD dst_unused:UNUSED_PAD src0_sel:DWORD src1_sel:WORD_1
	v_fma_f16 v7, v3, v5, v7
	v_mul_f16_sdwa v3, v3, v5 dst_sel:DWORD dst_unused:UNUSED_PAD src0_sel:DWORD src1_sel:WORD_1
	v_cvt_f32_f16_e32 v7, v7
	v_fma_f16 v3, v5, v6, -v3
	v_cvt_f32_f16_e32 v3, v3
	v_cvt_f64_f32_e32 v[5:6], v7
	v_add_co_u32_e32 v7, vcc, s11, v8
	v_cvt_f64_f32_e32 v[10:11], v3
	v_mul_f64 v[5:6], v[5:6], s[14:15]
	v_mov_b32_e32 v3, s12
	v_addc_co_u32_e32 v8, vcc, v9, v3, vcc
	v_mul_f64 v[10:11], v[10:11], s[14:15]
	v_and_or_b32 v3, v6, s16, v5
	v_cmp_ne_u32_e32 vcc, 0, v3
	v_lshrrev_b32_e32 v5, 8, v6
	v_bfe_u32 v9, v6, 20, 11
	v_and_or_b32 v10, v11, s16, v10
	v_cndmask_b32_e64 v3, 0, 1, vcc
	v_cmp_ne_u32_e32 vcc, 0, v10
	v_lshrrev_b32_e32 v12, 8, v11
	v_bfe_u32 v13, v11, 20, 11
	v_sub_u32_e32 v14, 0x3f1, v9
	v_cndmask_b32_e64 v10, 0, 1, vcc
	v_and_or_b32 v3, v5, s10, v3
	v_sub_u32_e32 v15, 0x3f1, v13
	v_med3_i32 v5, v14, 0, 13
	v_and_or_b32 v10, v12, s10, v10
	v_or_b32_e32 v14, 0x1000, v3
	v_add_u32_e32 v9, 0xfffffc10, v9
	v_med3_i32 v12, v15, 0, 13
	v_cmp_ne_u32_e32 vcc, 0, v3
	v_or_b32_e32 v16, 0x1000, v10
	v_lshrrev_b32_e32 v18, v5, v14
	v_add_u32_e32 v13, 0xfffffc10, v13
	v_lshl_or_b32 v15, v9, 12, v3
	v_cndmask_b32_e64 v3, 0, 1, vcc
	v_cmp_ne_u32_e32 vcc, 0, v10
	v_lshrrev_b32_e32 v19, v12, v16
	v_lshlrev_b32_e32 v5, v5, v18
	v_lshl_or_b32 v17, v13, 12, v10
	v_cndmask_b32_e64 v10, 0, 1, vcc
	v_lshlrev_b32_e32 v12, v12, v19
	v_cmp_ne_u32_e32 vcc, v5, v14
	v_cndmask_b32_e64 v5, 0, 1, vcc
	v_cmp_ne_u32_e32 vcc, v12, v16
	v_cndmask_b32_e64 v12, 0, 1, vcc
	v_or_b32_e32 v5, v18, v5
	v_cmp_gt_i32_e32 vcc, 1, v9
	v_cndmask_b32_e32 v5, v15, v5, vcc
	v_or_b32_e32 v12, v19, v12
	v_cmp_gt_i32_e32 vcc, 1, v13
	v_and_b32_e32 v14, 7, v5
	v_cndmask_b32_e32 v12, v17, v12, vcc
	v_cmp_lt_i32_e32 vcc, 5, v14
	v_cmp_eq_u32_e64 s[0:1], 3, v14
	v_lshrrev_b32_e32 v5, 2, v5
	v_and_b32_e32 v15, 7, v12
	s_or_b64 vcc, s[0:1], vcc
	v_cmp_lt_i32_e64 s[2:3], 5, v15
	v_cmp_eq_u32_e64 s[4:5], 3, v15
	v_addc_co_u32_e32 v5, vcc, 0, v5, vcc
	v_lshrrev_b32_e32 v12, 2, v12
	s_or_b64 vcc, s[4:5], s[2:3]
	v_addc_co_u32_e32 v12, vcc, 0, v12, vcc
	v_cmp_gt_i32_e32 vcc, 31, v9
	v_cndmask_b32_e32 v5, v0, v5, vcc
	v_cmp_gt_i32_e32 vcc, 31, v13
	v_lshl_or_b32 v3, v3, 9, v0
	v_cndmask_b32_e32 v12, v0, v12, vcc
	v_cmp_eq_u32_e32 vcc, s18, v9
	v_lshrrev_b32_e32 v6, 16, v6
	v_lshl_or_b32 v10, v10, 9, v0
	v_cndmask_b32_e32 v3, v5, v3, vcc
	v_cmp_eq_u32_e32 vcc, s18, v13
	v_lshrrev_b32_e32 v11, 16, v11
	v_cndmask_b32_e32 v5, v12, v10, vcc
	v_and_or_b32 v3, v6, s17, v3
	v_and_or_b32 v5, v11, s17, v5
	v_and_b32_e32 v3, 0xffff, v3
	v_lshl_or_b32 v3, v5, 16, v3
	global_store_dword v[7:8], v3, off
	global_load_dword v3, v26, s[6:7] offset:576
	v_lshrrev_b32_e32 v7, 16, v4
	v_or_b32_e32 v9, 0x90, v25
	v_mad_u64_u32 v[5:6], s[0:1], s8, v9, 0
	s_waitcnt vmcnt(0)
	v_mul_f16_sdwa v8, v7, v3 dst_sel:DWORD dst_unused:UNUSED_PAD src0_sel:DWORD src1_sel:WORD_1
	v_fma_f16 v8, v4, v3, v8
	v_mul_f16_sdwa v4, v4, v3 dst_sel:DWORD dst_unused:UNUSED_PAD src0_sel:DWORD src1_sel:WORD_1
	v_cvt_f32_f16_e32 v8, v8
	v_fma_f16 v3, v3, v7, -v4
	v_cvt_f32_f16_e32 v7, v3
	v_cvt_f64_f32_e32 v[3:4], v8
	v_cvt_f64_f32_e32 v[7:8], v7
	v_mul_f64 v[3:4], v[3:4], s[14:15]
	v_mad_u64_u32 v[9:10], s[0:1], s9, v9, v[6:7]
	v_mul_f64 v[7:8], v[7:8], s[14:15]
	v_mov_b32_e32 v6, v9
	v_lshlrev_b64 v[5:6], 2, v[5:6]
	v_and_or_b32 v3, v4, s16, v3
	v_cmp_ne_u32_e32 vcc, 0, v3
	v_lshrrev_b32_e32 v9, 8, v4
	v_bfe_u32 v10, v4, 20, 11
	v_and_or_b32 v7, v8, s16, v7
	v_cndmask_b32_e64 v3, 0, 1, vcc
	v_cmp_ne_u32_e32 vcc, 0, v7
	v_lshrrev_b32_e32 v11, 8, v8
	v_bfe_u32 v12, v8, 20, 11
	v_sub_u32_e32 v13, 0x3f1, v10
	v_cndmask_b32_e64 v7, 0, 1, vcc
	v_and_or_b32 v3, v9, s10, v3
	v_sub_u32_e32 v14, 0x3f1, v12
	v_med3_i32 v9, v13, 0, 13
	v_and_or_b32 v7, v11, s10, v7
	v_or_b32_e32 v13, 0x1000, v3
	v_add_u32_e32 v10, 0xfffffc10, v10
	v_med3_i32 v11, v14, 0, 13
	v_cmp_ne_u32_e32 vcc, 0, v3
	v_or_b32_e32 v15, 0x1000, v7
	v_lshrrev_b32_e32 v17, v9, v13
	v_add_u32_e32 v12, 0xfffffc10, v12
	v_lshl_or_b32 v14, v10, 12, v3
	v_cndmask_b32_e64 v3, 0, 1, vcc
	v_cmp_ne_u32_e32 vcc, 0, v7
	v_lshrrev_b32_e32 v18, v11, v15
	v_lshlrev_b32_e32 v9, v9, v17
	v_lshl_or_b32 v16, v12, 12, v7
	v_cndmask_b32_e64 v7, 0, 1, vcc
	v_lshlrev_b32_e32 v11, v11, v18
	v_cmp_ne_u32_e32 vcc, v9, v13
	v_cndmask_b32_e64 v9, 0, 1, vcc
	v_cmp_ne_u32_e32 vcc, v11, v15
	v_cndmask_b32_e64 v11, 0, 1, vcc
	v_or_b32_e32 v9, v17, v9
	v_cmp_gt_i32_e32 vcc, 1, v10
	v_cndmask_b32_e32 v9, v14, v9, vcc
	v_or_b32_e32 v11, v18, v11
	v_cmp_gt_i32_e32 vcc, 1, v12
	v_and_b32_e32 v13, 7, v9
	v_cndmask_b32_e32 v11, v16, v11, vcc
	v_cmp_lt_i32_e32 vcc, 5, v13
	v_cmp_eq_u32_e64 s[0:1], 3, v13
	v_lshrrev_b32_e32 v9, 2, v9
	v_and_b32_e32 v14, 7, v11
	s_or_b64 vcc, s[0:1], vcc
	v_cmp_lt_i32_e64 s[2:3], 5, v14
	v_cmp_eq_u32_e64 s[4:5], 3, v14
	v_addc_co_u32_e32 v9, vcc, 0, v9, vcc
	v_lshrrev_b32_e32 v11, 2, v11
	s_or_b64 vcc, s[4:5], s[2:3]
	v_addc_co_u32_e32 v11, vcc, 0, v11, vcc
	v_cmp_gt_i32_e32 vcc, 31, v10
	v_cndmask_b32_e32 v9, v0, v9, vcc
	v_cmp_gt_i32_e32 vcc, 31, v12
	v_lshl_or_b32 v3, v3, 9, v0
	v_lshl_or_b32 v7, v7, 9, v0
	v_cndmask_b32_e32 v0, v0, v11, vcc
	v_cmp_eq_u32_e32 vcc, s18, v10
	v_lshrrev_b32_e32 v4, 16, v4
	v_cndmask_b32_e32 v3, v9, v3, vcc
	v_cmp_eq_u32_e32 vcc, s18, v12
	v_lshrrev_b32_e32 v8, 16, v8
	v_cndmask_b32_e32 v0, v0, v7, vcc
	v_and_or_b32 v3, v4, s17, v3
	v_and_or_b32 v0, v8, s17, v0
	v_and_b32_e32 v3, 0xffff, v3
	v_lshl_or_b32 v3, v0, 16, v3
	v_add_co_u32_e32 v0, vcc, v1, v5
	v_addc_co_u32_e32 v1, vcc, v2, v6, vcc
	global_store_dword v[0:1], v3, off
.LBB0_15:
	s_endpgm
	.section	.rodata,"a",@progbits
	.p2align	6, 0x0
	.amdhsa_kernel bluestein_single_fwd_len153_dim1_half_op_CI_CI
		.amdhsa_group_segment_fixed_size 4284
		.amdhsa_private_segment_fixed_size 0
		.amdhsa_kernarg_size 104
		.amdhsa_user_sgpr_count 6
		.amdhsa_user_sgpr_private_segment_buffer 1
		.amdhsa_user_sgpr_dispatch_ptr 0
		.amdhsa_user_sgpr_queue_ptr 0
		.amdhsa_user_sgpr_kernarg_segment_ptr 1
		.amdhsa_user_sgpr_dispatch_id 0
		.amdhsa_user_sgpr_flat_scratch_init 0
		.amdhsa_user_sgpr_private_segment_size 0
		.amdhsa_uses_dynamic_stack 0
		.amdhsa_system_sgpr_private_segment_wavefront_offset 0
		.amdhsa_system_sgpr_workgroup_id_x 1
		.amdhsa_system_sgpr_workgroup_id_y 0
		.amdhsa_system_sgpr_workgroup_id_z 0
		.amdhsa_system_sgpr_workgroup_info 0
		.amdhsa_system_vgpr_workitem_id 0
		.amdhsa_next_free_vgpr 254
		.amdhsa_next_free_sgpr 35
		.amdhsa_reserve_vcc 1
		.amdhsa_reserve_flat_scratch 0
		.amdhsa_float_round_mode_32 0
		.amdhsa_float_round_mode_16_64 0
		.amdhsa_float_denorm_mode_32 3
		.amdhsa_float_denorm_mode_16_64 3
		.amdhsa_dx10_clamp 1
		.amdhsa_ieee_mode 1
		.amdhsa_fp16_overflow 0
		.amdhsa_exception_fp_ieee_invalid_op 0
		.amdhsa_exception_fp_denorm_src 0
		.amdhsa_exception_fp_ieee_div_zero 0
		.amdhsa_exception_fp_ieee_overflow 0
		.amdhsa_exception_fp_ieee_underflow 0
		.amdhsa_exception_fp_ieee_inexact 0
		.amdhsa_exception_int_div_zero 0
	.end_amdhsa_kernel
	.text
.Lfunc_end0:
	.size	bluestein_single_fwd_len153_dim1_half_op_CI_CI, .Lfunc_end0-bluestein_single_fwd_len153_dim1_half_op_CI_CI
                                        ; -- End function
	.section	.AMDGPU.csdata,"",@progbits
; Kernel info:
; codeLenInByte = 24488
; NumSgprs: 39
; NumVgprs: 254
; ScratchSize: 0
; MemoryBound: 0
; FloatMode: 240
; IeeeMode: 1
; LDSByteSize: 4284 bytes/workgroup (compile time only)
; SGPRBlocks: 4
; VGPRBlocks: 63
; NumSGPRsForWavesPerEU: 39
; NumVGPRsForWavesPerEU: 254
; Occupancy: 1
; WaveLimiterHint : 1
; COMPUTE_PGM_RSRC2:SCRATCH_EN: 0
; COMPUTE_PGM_RSRC2:USER_SGPR: 6
; COMPUTE_PGM_RSRC2:TRAP_HANDLER: 0
; COMPUTE_PGM_RSRC2:TGID_X_EN: 1
; COMPUTE_PGM_RSRC2:TGID_Y_EN: 0
; COMPUTE_PGM_RSRC2:TGID_Z_EN: 0
; COMPUTE_PGM_RSRC2:TIDIG_COMP_CNT: 0
	.type	__hip_cuid_825e3a1572fd51f2,@object ; @__hip_cuid_825e3a1572fd51f2
	.section	.bss,"aw",@nobits
	.globl	__hip_cuid_825e3a1572fd51f2
__hip_cuid_825e3a1572fd51f2:
	.byte	0                               ; 0x0
	.size	__hip_cuid_825e3a1572fd51f2, 1

	.ident	"AMD clang version 19.0.0git (https://github.com/RadeonOpenCompute/llvm-project roc-6.4.0 25133 c7fe45cf4b819c5991fe208aaa96edf142730f1d)"
	.section	".note.GNU-stack","",@progbits
	.addrsig
	.addrsig_sym __hip_cuid_825e3a1572fd51f2
	.amdgpu_metadata
---
amdhsa.kernels:
  - .args:
      - .actual_access:  read_only
        .address_space:  global
        .offset:         0
        .size:           8
        .value_kind:     global_buffer
      - .actual_access:  read_only
        .address_space:  global
        .offset:         8
        .size:           8
        .value_kind:     global_buffer
      - .actual_access:  read_only
        .address_space:  global
        .offset:         16
        .size:           8
        .value_kind:     global_buffer
      - .actual_access:  read_only
        .address_space:  global
        .offset:         24
        .size:           8
        .value_kind:     global_buffer
      - .actual_access:  read_only
        .address_space:  global
        .offset:         32
        .size:           8
        .value_kind:     global_buffer
      - .offset:         40
        .size:           8
        .value_kind:     by_value
      - .address_space:  global
        .offset:         48
        .size:           8
        .value_kind:     global_buffer
      - .address_space:  global
        .offset:         56
        .size:           8
        .value_kind:     global_buffer
      - .address_space:  global
        .offset:         64
        .size:           8
        .value_kind:     global_buffer
      - .address_space:  global
        .offset:         72
        .size:           8
        .value_kind:     global_buffer
      - .offset:         80
        .size:           4
        .value_kind:     by_value
      - .address_space:  global
        .offset:         88
        .size:           8
        .value_kind:     global_buffer
      - .address_space:  global
        .offset:         96
        .size:           8
        .value_kind:     global_buffer
    .group_segment_fixed_size: 4284
    .kernarg_segment_align: 8
    .kernarg_segment_size: 104
    .language:       OpenCL C
    .language_version:
      - 2
      - 0
    .max_flat_workgroup_size: 119
    .name:           bluestein_single_fwd_len153_dim1_half_op_CI_CI
    .private_segment_fixed_size: 0
    .sgpr_count:     39
    .sgpr_spill_count: 0
    .symbol:         bluestein_single_fwd_len153_dim1_half_op_CI_CI.kd
    .uniform_work_group_size: 1
    .uses_dynamic_stack: false
    .vgpr_count:     254
    .vgpr_spill_count: 0
    .wavefront_size: 64
amdhsa.target:   amdgcn-amd-amdhsa--gfx906
amdhsa.version:
  - 1
  - 2
...

	.end_amdgpu_metadata
